;; amdgpu-corpus repo=ROCm/rocFFT kind=compiled arch=gfx1100 opt=O3
	.text
	.amdgcn_target "amdgcn-amd-amdhsa--gfx1100"
	.amdhsa_code_object_version 6
	.protected	bluestein_single_fwd_len686_dim1_dp_op_CI_CI ; -- Begin function bluestein_single_fwd_len686_dim1_dp_op_CI_CI
	.globl	bluestein_single_fwd_len686_dim1_dp_op_CI_CI
	.p2align	8
	.type	bluestein_single_fwd_len686_dim1_dp_op_CI_CI,@function
bluestein_single_fwd_len686_dim1_dp_op_CI_CI: ; @bluestein_single_fwd_len686_dim1_dp_op_CI_CI
; %bb.0:
	s_load_b128 s[16:19], s[0:1], 0x28
	v_mul_u32_u24_e32 v1, 0x53a, v0
	s_mov_b32 s2, exec_lo
	v_mov_b32_e32 v157, 0
	s_delay_alu instid0(VALU_DEP_2) | instskip(NEXT) | instid1(VALU_DEP_1)
	v_lshrrev_b32_e32 v1, 16, v1
	v_add_nc_u32_e32 v156, s15, v1
	s_waitcnt lgkmcnt(0)
	s_delay_alu instid0(VALU_DEP_1)
	v_cmpx_gt_u64_e64 s[16:17], v[156:157]
	s_cbranch_execz .LBB0_2
; %bb.1:
	s_clause 0x1
	s_load_b128 s[4:7], s[0:1], 0x18
	s_load_b128 s[8:11], s[0:1], 0x0
	v_mul_lo_u16 v1, v1, 49
	s_mov_b32 s22, 0x37e14327
	s_mov_b32 s23, 0x3fe948f6
	;; [unrolled: 1-line block ×4, first 2 shown]
	v_sub_nc_u16 v60, v0, v1
	s_mov_b32 s16, 0x5476071b
	s_mov_b32 s24, 0xb247c609
	;; [unrolled: 1-line block ×4, first 2 shown]
	v_and_b32_e32 v160, 0xffff, v60
	s_mov_b32 s27, 0xbfd5d0dc
	s_mov_b32 s26, s24
	;; [unrolled: 1-line block ×5, first 2 shown]
	s_load_b64 s[0:1], s[0:1], 0x38
	s_waitcnt lgkmcnt(0)
	s_load_b128 s[12:15], s[4:5], 0x0
	s_waitcnt lgkmcnt(0)
	v_mad_u64_u32 v[24:25], null, s14, v156, 0
	v_mad_u64_u32 v[26:27], null, s12, v160, 0
	s_mul_i32 s4, s13, 0x620
	s_mul_hi_u32 s5, s12, 0x620
	s_delay_alu instid0(SALU_CYCLE_1) | instskip(NEXT) | instid1(VALU_DEP_2)
	s_add_i32 s5, s5, s4
	v_mov_b32_e32 v4, v25
	s_delay_alu instid0(VALU_DEP_2) | instskip(NEXT) | instid1(VALU_DEP_2)
	v_mov_b32_e32 v16, v27
	v_mad_u64_u32 v[27:28], null, s15, v156, v[4:5]
	s_mov_b32 s14, 0xaaaaaaaa
	s_mov_b32 s15, 0xbff2aaaa
	s_delay_alu instid0(VALU_DEP_1) | instskip(SKIP_2) | instid1(VALU_DEP_3)
	v_mov_b32_e32 v25, v27
	v_mad_u64_u32 v[28:29], null, s13, v160, v[16:17]
	v_lshlrev_b32_e32 v159, 4, v160
	v_lshlrev_b64 v[24:25], 4, v[24:25]
	s_delay_alu instid0(VALU_DEP_2) | instskip(NEXT) | instid1(VALU_DEP_4)
	v_add_co_u32 v161, s2, s8, v159
	v_mov_b32_e32 v27, v28
	s_delay_alu instid0(VALU_DEP_3) | instskip(NEXT) | instid1(VALU_DEP_1)
	v_add_co_u32 v24, s3, s18, v24
	v_add_co_ci_u32_e64 v25, s3, s19, v25, s3
	s_delay_alu instid0(VALU_DEP_3)
	v_lshlrev_b64 v[26:27], 4, v[26:27]
	s_clause 0x5
	global_load_b128 v[0:3], v159, s[8:9]
	global_load_b128 v[4:7], v159, s[8:9] offset:784
	global_load_b128 v[8:11], v159, s[8:9] offset:1568
	;; [unrolled: 1-line block ×5, first 2 shown]
	s_mul_i32 s8, s12, 0x620
	v_add_co_ci_u32_e64 v162, null, s9, 0, s2
	v_add_co_u32 v48, s3, v24, v26
	s_delay_alu instid0(VALU_DEP_1) | instskip(SKIP_1) | instid1(VALU_DEP_3)
	v_add_co_ci_u32_e64 v49, s3, v25, v27, s3
	v_add_co_u32 v44, vcc_lo, 0x1000, v161
	v_add_co_u32 v50, s3, v48, s8
	s_delay_alu instid0(VALU_DEP_1) | instskip(SKIP_1) | instid1(VALU_DEP_3)
	v_add_co_ci_u32_e64 v51, s3, s5, v49, s3
	v_add_co_ci_u32_e32 v45, vcc_lo, 0, v162, vcc_lo
	v_add_co_u32 v52, vcc_lo, v50, s8
	v_add_co_u32 v157, s2, 0x2000, v161
	s_delay_alu instid0(VALU_DEP_4) | instskip(SKIP_1) | instid1(VALU_DEP_4)
	v_add_co_ci_u32_e32 v53, vcc_lo, s5, v51, vcc_lo
	v_add_co_ci_u32_e64 v158, vcc_lo, 0, v162, s2
	v_add_co_u32 v54, vcc_lo, v52, s8
	s_delay_alu instid0(VALU_DEP_3) | instskip(SKIP_1) | instid1(VALU_DEP_2)
	v_add_co_ci_u32_e32 v55, vcc_lo, s5, v53, vcc_lo
	s_mul_i32 s2, s13, 0xffffde50
	v_add_co_u32 v73, vcc_lo, v54, s8
	s_delay_alu instid0(VALU_DEP_2) | instskip(SKIP_1) | instid1(VALU_DEP_2)
	v_add_co_ci_u32_e32 v74, vcc_lo, s5, v55, vcc_lo
	s_sub_i32 s2, s2, s12
	v_add_co_u32 v77, vcc_lo, v73, s8
	s_delay_alu instid0(VALU_DEP_2)
	v_add_co_ci_u32_e32 v78, vcc_lo, s5, v74, vcc_lo
	s_clause 0x1
	global_load_b128 v[24:27], v[44:45], off offset:3744
	global_load_b128 v[32:35], v[44:45], off offset:608
	v_add_co_u32 v81, vcc_lo, v77, s8
	v_add_co_ci_u32_e32 v82, vcc_lo, s5, v78, vcc_lo
	s_clause 0x3
	global_load_b128 v[28:31], v[157:158], off offset:1216
	global_load_b128 v[36:39], v[44:45], off offset:1392
	;; [unrolled: 1-line block ×4, first 2 shown]
	v_mad_u64_u32 v[85:86], null, 0xffffde50, s12, v[81:82]
	s_clause 0x4
	global_load_b128 v[56:59], v[48:49], off
	global_load_b128 v[61:64], v[50:51], off
	;; [unrolled: 1-line block ×7, first 2 shown]
	s_mov_b32 s12, 0x429ad128
	s_mov_b32 s13, 0xbfebfeb5
	;; [unrolled: 1-line block ×3, first 2 shown]
	v_add_nc_u32_e32 v86, s2, v86
	v_add_co_u32 v48, vcc_lo, v85, s8
	s_mov_b32 s18, s16
	s_mov_b32 s28, s12
	s_delay_alu instid0(VALU_DEP_2) | instskip(NEXT) | instid1(VALU_DEP_2)
	v_add_co_ci_u32_e32 v49, vcc_lo, s5, v86, vcc_lo
	v_add_co_u32 v50, vcc_lo, v48, s8
	global_load_b128 v[85:88], v[85:86], off
	v_add_co_ci_u32_e32 v51, vcc_lo, s5, v49, vcc_lo
	v_add_co_u32 v52, vcc_lo, v50, s8
	global_load_b128 v[89:92], v[48:49], off
	;; [unrolled: 3-line block ×4, first 2 shown]
	v_add_co_ci_u32_e32 v55, vcc_lo, s5, v49, vcc_lo
	v_add_co_u32 v109, vcc_lo, v54, s8
	s_mov_b32 s8, 0x36b3c0b5
	s_delay_alu instid0(VALU_DEP_2)
	v_add_co_ci_u32_e32 v110, vcc_lo, s5, v55, vcc_lo
	global_load_b128 v[101:104], v[48:49], off
	global_load_b128 v[48:51], v[157:158], off offset:432
	global_load_b128 v[105:108], v[54:55], off
	global_load_b128 v[52:55], v[157:158], off offset:2000
	global_load_b128 v[109:112], v[109:110], off
	s_load_b128 s[4:7], s[6:7], 0x0
	s_mov_b32 s9, 0x3fac98ee
	s_waitcnt lgkmcnt(0)
	s_mul_hi_u32 s3, s4, 0x620
	s_waitcnt vmcnt(15)
	v_mul_f64 v[113:114], v[58:59], v[2:3]
	v_mul_f64 v[115:116], v[56:57], v[2:3]
	s_waitcnt vmcnt(14)
	v_mul_f64 v[117:118], v[63:64], v[10:11]
	v_mul_f64 v[119:120], v[61:62], v[10:11]
	;; [unrolled: 3-line block ×14, first 2 shown]
	v_fma_f64 v[56:57], v[56:57], v[0:1], v[113:114]
	v_fma_f64 v[58:59], v[58:59], v[0:1], -v[115:116]
	v_fma_f64 v[61:62], v[61:62], v[8:9], v[117:118]
	v_fma_f64 v[63:64], v[63:64], v[8:9], -v[119:120]
	;; [unrolled: 2-line block ×11, first 2 shown]
	v_and_b32_e32 v153, 0xff, v60
	v_add_co_u32 v154, null, v160, 49
	v_fma_f64 v[101:102], v[101:102], v[44:45], v[165:166]
	v_fma_f64 v[103:104], v[103:104], v[44:45], -v[167:168]
	v_fma_f64 v[105:106], v[105:106], v[48:49], v[169:170]
	v_fma_f64 v[107:108], v[107:108], v[48:49], -v[171:172]
	;; [unrolled: 2-line block ×3, first 2 shown]
	ds_store_b128 v159, v[56:59]
	ds_store_b128 v159, v[61:64] offset:1568
	ds_store_b128 v159, v[65:68] offset:3136
	;; [unrolled: 1-line block ×13, first 2 shown]
	s_waitcnt lgkmcnt(0)
	s_barrier
	buffer_gl0_inv
	ds_load_b128 v[56:59], v159 offset:9408
	ds_load_b128 v[61:64], v159 offset:1568
	;; [unrolled: 1-line block ×12, first 2 shown]
	s_waitcnt lgkmcnt(10)
	v_add_f64 v[105:106], v[61:62], v[56:57]
	v_add_f64 v[107:108], v[63:64], v[58:59]
	s_waitcnt lgkmcnt(8)
	v_add_f64 v[109:110], v[65:66], v[69:70]
	v_add_f64 v[111:112], v[67:68], v[71:72]
	s_waitcnt lgkmcnt(6)
	v_add_f64 v[113:114], v[73:74], v[77:78]
	v_add_f64 v[115:116], v[75:76], v[79:80]
	s_waitcnt lgkmcnt(4)
	v_add_f64 v[117:118], v[81:82], v[85:86]
	v_add_f64 v[119:120], v[83:84], v[87:88]
	s_waitcnt lgkmcnt(2)
	v_add_f64 v[121:122], v[93:94], v[89:90]
	v_add_f64 v[123:124], v[95:96], v[91:92]
	v_add_f64 v[65:66], v[65:66], -v[69:70]
	v_add_f64 v[67:68], v[67:68], -v[71:72]
	;; [unrolled: 1-line block ×8, first 2 shown]
	s_waitcnt lgkmcnt(0)
	v_add_f64 v[61:62], v[97:98], v[101:102]
	v_add_f64 v[63:64], v[99:100], v[103:104]
	v_add_f64 v[85:86], v[101:102], -v[97:98]
	v_add_f64 v[87:88], v[103:104], -v[99:100]
	;; [unrolled: 1-line block ×4, first 2 shown]
	v_add_f64 v[56:57], v[109:110], v[105:106]
	v_add_f64 v[58:59], v[111:112], v[107:108]
	v_add_f64 v[77:78], v[117:118], v[113:114]
	v_add_f64 v[79:80], v[119:120], v[115:116]
	v_add_f64 v[93:94], v[105:106], -v[121:122]
	v_add_f64 v[95:96], v[107:108], -v[123:124]
	;; [unrolled: 1-line block ×18, first 2 shown]
	v_add_f64 v[65:66], v[69:70], v[65:66]
	v_add_f64 v[67:68], v[71:72], v[67:68]
	v_add_f64 v[69:70], v[89:90], -v[69:70]
	v_add_f64 v[71:72], v[91:92], -v[71:72]
	v_add_f64 v[81:82], v[85:86], v[81:82]
	v_add_f64 v[83:84], v[87:88], v[83:84]
	v_add_f64 v[85:86], v[73:74], -v[85:86]
	v_add_f64 v[87:88], v[75:76], -v[87:88]
	;; [unrolled: 1-line block ×4, first 2 shown]
	v_add_f64 v[121:122], v[121:122], v[56:57]
	v_add_f64 v[123:124], v[123:124], v[58:59]
	;; [unrolled: 1-line block ×4, first 2 shown]
	ds_load_b128 v[56:59], v159
	ds_load_b128 v[61:64], v159 offset:784
	v_mul_f64 v[93:94], v[93:94], s[22:23]
	v_mul_f64 v[95:96], v[95:96], s[22:23]
	;; [unrolled: 1-line block ×8, first 2 shown]
	s_waitcnt lgkmcnt(0)
	v_mul_f64 v[129:130], v[129:130], s[22:23]
	v_mul_f64 v[131:132], v[131:132], s[22:23]
	;; [unrolled: 1-line block ×8, first 2 shown]
	v_add_f64 v[65:66], v[65:66], v[89:90]
	v_add_f64 v[67:68], v[67:68], v[91:92]
	s_barrier
	buffer_gl0_inv
	v_add_f64 v[73:74], v[81:82], v[73:74]
	v_add_f64 v[75:76], v[83:84], v[75:76]
	;; [unrolled: 1-line block ×6, first 2 shown]
	v_fma_f64 v[81:82], v[97:98], s[8:9], v[93:94]
	v_fma_f64 v[83:84], v[99:100], s[8:9], v[95:96]
	v_fma_f64 v[89:90], v[105:106], s[16:17], -v[109:110]
	v_fma_f64 v[91:92], v[107:108], s[16:17], -v[111:112]
	v_fma_f64 v[97:98], v[69:70], s[24:25], v[101:102]
	v_fma_f64 v[99:100], v[71:72], s[24:25], v[103:104]
	;; [unrolled: 1-line block ×4, first 2 shown]
	v_fma_f64 v[93:94], v[105:106], s[18:19], -v[93:94]
	v_fma_f64 v[95:96], v[107:108], s[18:19], -v[95:96]
	;; [unrolled: 1-line block ×4, first 2 shown]
	v_fma_f64 v[105:106], v[141:142], s[8:9], v[129:130]
	v_fma_f64 v[107:108], v[143:144], s[8:9], v[131:132]
	v_fma_f64 v[125:126], v[137:138], s[28:29], -v[133:134]
	v_fma_f64 v[127:128], v[139:140], s[28:29], -v[135:136]
	;; [unrolled: 1-line block ×6, first 2 shown]
	v_mul_lo_u16 v117, v153, 37
	v_and_b32_e32 v118, 0xff, v154
	s_delay_alu instid0(VALU_DEP_2) | instskip(NEXT) | instid1(VALU_DEP_2)
	v_lshrrev_b16 v141, 8, v117
	v_mul_lo_u16 v117, v118, 37
	s_delay_alu instid0(VALU_DEP_2)
	v_sub_nc_u16 v142, v60, v141
	v_fma_f64 v[109:110], v[121:122], s[14:15], v[56:57]
	v_fma_f64 v[111:112], v[123:124], s[14:15], v[58:59]
	;; [unrolled: 1-line block ×8, first 2 shown]
	v_lshrrev_b16 v143, 8, v117
	v_fma_f64 v[97:98], v[65:66], s[30:31], v[97:98]
	v_fma_f64 v[99:100], v[67:68], s[30:31], v[99:100]
	;; [unrolled: 1-line block ×6, first 2 shown]
	v_lshrrev_b16 v65, 1, v142
	v_sub_nc_u16 v66, v154, v143
	s_delay_alu instid0(VALU_DEP_2) | instskip(NEXT) | instid1(VALU_DEP_2)
	v_and_b32_e32 v65, 0x7f, v65
	v_lshrrev_b16 v66, 1, v66
	s_delay_alu instid0(VALU_DEP_2) | instskip(NEXT) | instid1(VALU_DEP_2)
	v_add_nc_u16 v65, v65, v141
	v_and_b32_e32 v66, 0x7f, v66
	s_delay_alu instid0(VALU_DEP_1)
	v_add_nc_u16 v141, v66, v143
	v_add_f64 v[133:134], v[81:82], v[109:110]
	v_add_f64 v[135:136], v[83:84], v[111:112]
	;; [unrolled: 1-line block ×6, first 2 shown]
	v_fma_f64 v[121:122], v[73:74], s[30:31], v[121:122]
	v_fma_f64 v[123:124], v[75:76], s[30:31], v[123:124]
	v_add_f64 v[105:106], v[105:106], v[77:78]
	v_add_f64 v[139:140], v[107:108], v[79:80]
	v_fma_f64 v[110:111], v[73:74], s[30:31], v[125:126]
	v_fma_f64 v[125:126], v[75:76], s[30:31], v[127:128]
	;; [unrolled: 1-line block ×4, first 2 shown]
	v_add_f64 v[129:130], v[129:130], v[77:78]
	v_add_f64 v[131:132], v[131:132], v[79:80]
	;; [unrolled: 1-line block ×4, first 2 shown]
	v_lshrrev_b16 v107, 2, v65
	v_add_f64 v[65:66], v[133:134], v[99:100]
	v_add_f64 v[67:68], v[135:136], -v[97:98]
	v_add_f64 v[69:70], v[81:82], v[119:120]
	v_add_f64 v[71:72], v[83:84], -v[117:118]
	v_add_f64 v[73:74], v[89:90], -v[103:104]
	v_add_f64 v[75:76], v[101:102], v[91:92]
	v_add_f64 v[77:78], v[89:90], v[103:104]
	v_add_f64 v[79:80], v[91:92], -v[101:102]
	v_add_f64 v[81:82], v[81:82], -v[119:120]
	v_add_f64 v[83:84], v[117:118], v[83:84]
	v_add_f64 v[85:86], v[133:134], -v[99:100]
	v_add_f64 v[87:88], v[97:98], v[135:136]
	v_add_f64 v[89:90], v[105:106], v[123:124]
	v_add_f64 v[91:92], v[139:140], -v[121:122]
	v_add_f64 v[93:94], v[129:130], v[137:138]
	v_add_f64 v[95:96], v[131:132], -v[127:128]
	v_add_f64 v[97:98], v[108:109], -v[125:126]
	v_add_f64 v[99:100], v[110:111], v[112:113]
	v_add_f64 v[108:109], v[108:109], v[125:126]
	v_add_f64 v[110:111], v[112:113], -v[110:111]
	v_add_f64 v[112:113], v[129:130], -v[137:138]
	v_add_f64 v[114:115], v[127:128], v[131:132]
	v_add_f64 v[116:117], v[105:106], -v[123:124]
	v_add_f64 v[118:119], v[121:122], v[139:140]
	v_mul_lo_u16 v101, v107, 7
	v_lshrrev_b16 v106, 2, v141
	v_and_b32_e32 v107, 0xffff, v107
	s_delay_alu instid0(VALU_DEP_3) | instskip(SKIP_1) | instid1(VALU_DEP_4)
	v_sub_nc_u16 v101, v60, v101
	v_mul_lo_u16 v60, v60, 7
	v_mul_lo_u16 v102, v106, 7
	v_and_b32_e32 v106, 0xffff, v106
	v_mul_u32_u24_e32 v107, 49, v107
	v_and_b32_e32 v104, 0xff, v101
	v_and_b32_e32 v60, 0xffff, v60
	v_sub_nc_u16 v102, v154, v102
	v_mul_u32_u24_e32 v101, 7, v154
	v_mul_u32_u24_e32 v106, 49, v106
	;; [unrolled: 1-line block ×3, first 2 shown]
	v_lshlrev_b32_e32 v164, 4, v60
	v_and_b32_e32 v105, 0xff, v102
	v_lshlrev_b32_e32 v163, 4, v101
	ds_store_b128 v164, v[56:59]
	ds_store_b128 v164, v[65:68] offset:16
	ds_store_b128 v164, v[69:72] offset:32
	;; [unrolled: 1-line block ×6, first 2 shown]
	ds_store_b128 v163, v[61:64]
	ds_store_b128 v163, v[89:92] offset:16
	ds_store_b128 v163, v[93:96] offset:32
	;; [unrolled: 1-line block ×6, first 2 shown]
	v_lshlrev_b32_e32 v120, 4, v103
	s_waitcnt lgkmcnt(0)
	s_barrier
	buffer_gl0_inv
	v_mul_u32_u24_e32 v68, 6, v105
	s_clause 0x3
	global_load_b128 v[76:79], v120, s[10:11]
	global_load_b128 v[64:67], v120, s[10:11] offset:16
	global_load_b128 v[60:63], v120, s[10:11] offset:80
	;; [unrolled: 1-line block ×3, first 2 shown]
	v_lshlrev_b32_e32 v80, 4, v68
	s_clause 0x7
	global_load_b128 v[72:75], v80, s[10:11]
	global_load_b128 v[68:71], v80, s[10:11] offset:16
	global_load_b128 v[88:91], v80, s[10:11] offset:80
	;; [unrolled: 1-line block ×7, first 2 shown]
	ds_load_b128 v[108:111], v159 offset:1568
	ds_load_b128 v[112:115], v159 offset:3136
	ds_load_b128 v[116:119], v159 offset:9408
	ds_load_b128 v[120:123], v159 offset:7840
	ds_load_b128 v[124:127], v159 offset:2352
	ds_load_b128 v[128:131], v159 offset:3920
	ds_load_b128 v[132:135], v159 offset:10192
	ds_load_b128 v[136:139], v159 offset:8624
	ds_load_b128 v[140:143], v159 offset:6272
	ds_load_b128 v[144:147], v159 offset:4704
	ds_load_b128 v[148:151], v159 offset:5488
	ds_load_b128 v[152:155], v159 offset:7056
	s_waitcnt vmcnt(10) lgkmcnt(10)
	v_mul_f64 v[169:170], v[114:115], v[66:67]
	v_mul_f64 v[165:166], v[110:111], v[78:79]
	v_mul_f64 v[167:168], v[108:109], v[78:79]
	v_mul_f64 v[171:172], v[112:113], v[66:67]
	s_waitcnt vmcnt(9) lgkmcnt(9)
	v_mul_f64 v[173:174], v[118:119], v[62:63]
	v_mul_f64 v[175:176], v[116:117], v[62:63]
	s_waitcnt vmcnt(8) lgkmcnt(8)
	v_mul_f64 v[177:178], v[122:123], v[58:59]
	v_mul_f64 v[179:180], v[120:121], v[58:59]
	;; [unrolled: 3-line block ×7, first 2 shown]
	s_waitcnt vmcnt(2)
	v_mul_f64 v[201:202], v[142:143], v[94:95]
	v_mul_f64 v[203:204], v[140:141], v[94:95]
	v_fma_f64 v[112:113], v[112:113], v[64:65], -v[169:170]
	v_fma_f64 v[108:109], v[108:109], v[76:77], -v[165:166]
	v_fma_f64 v[110:111], v[110:111], v[76:77], v[167:168]
	v_fma_f64 v[114:115], v[114:115], v[64:65], v[171:172]
	v_fma_f64 v[116:117], v[116:117], v[60:61], -v[173:174]
	v_fma_f64 v[118:119], v[118:119], v[60:61], v[175:176]
	v_fma_f64 v[120:121], v[120:121], v[56:57], -v[177:178]
	v_fma_f64 v[122:123], v[122:123], v[56:57], v[179:180]
	s_waitcnt vmcnt(1) lgkmcnt(1)
	v_mul_f64 v[165:166], v[150:151], v[86:87]
	v_mul_f64 v[167:168], v[148:149], v[86:87]
	s_waitcnt vmcnt(0) lgkmcnt(0)
	v_mul_f64 v[169:170], v[154:155], v[82:83]
	v_mul_f64 v[171:172], v[152:153], v[82:83]
	v_fma_f64 v[124:125], v[124:125], v[72:73], -v[181:182]
	v_fma_f64 v[126:127], v[126:127], v[72:73], v[183:184]
	v_fma_f64 v[128:129], v[128:129], v[68:69], -v[185:186]
	v_fma_f64 v[130:131], v[130:131], v[68:69], v[187:188]
	;; [unrolled: 2-line block ×6, first 2 shown]
	v_add_f64 v[173:174], v[108:109], v[116:117]
	v_add_f64 v[175:176], v[110:111], v[118:119]
	;; [unrolled: 1-line block ×4, first 2 shown]
	v_fma_f64 v[148:149], v[148:149], v[84:85], -v[165:166]
	v_fma_f64 v[150:151], v[150:151], v[84:85], v[167:168]
	v_fma_f64 v[152:153], v[152:153], v[80:81], -v[169:170]
	v_fma_f64 v[154:155], v[154:155], v[80:81], v[171:172]
	v_add_f64 v[120:121], v[112:113], -v[120:121]
	v_add_f64 v[122:123], v[114:115], -v[122:123]
	;; [unrolled: 1-line block ×4, first 2 shown]
	v_add_f64 v[165:166], v[124:125], v[132:133]
	v_add_f64 v[167:168], v[126:127], v[134:135]
	;; [unrolled: 1-line block ×4, first 2 shown]
	v_add_f64 v[128:129], v[128:129], -v[136:137]
	v_add_f64 v[130:131], v[130:131], -v[138:139]
	v_add_f64 v[181:182], v[144:145], v[140:141]
	v_add_f64 v[183:184], v[146:147], v[142:143]
	v_add_f64 v[140:141], v[140:141], -v[144:145]
	v_add_f64 v[142:143], v[142:143], -v[146:147]
	;; [unrolled: 1-line block ×4, first 2 shown]
	v_add_f64 v[108:109], v[177:178], v[173:174]
	v_add_f64 v[110:111], v[179:180], v[175:176]
	;; [unrolled: 1-line block ×4, first 2 shown]
	v_add_f64 v[136:137], v[152:153], -v[148:149]
	v_add_f64 v[138:139], v[154:155], -v[150:151]
	;; [unrolled: 1-line block ×4, first 2 shown]
	v_add_f64 v[132:133], v[169:170], v[165:166]
	v_add_f64 v[134:135], v[171:172], v[167:168]
	v_add_f64 v[144:145], v[173:174], -v[181:182]
	v_add_f64 v[146:147], v[175:176], -v[183:184]
	;; [unrolled: 1-line block ×10, first 2 shown]
	v_add_f64 v[120:121], v[140:141], v[120:121]
	v_add_f64 v[122:123], v[142:143], v[122:123]
	v_add_f64 v[140:141], v[116:117], -v[140:141]
	v_add_f64 v[142:143], v[118:119], -v[142:143]
	v_add_f64 v[181:182], v[181:182], v[108:109]
	v_add_f64 v[183:184], v[183:184], v[110:111]
	v_add_f64 v[189:190], v[165:166], -v[112:113]
	v_add_f64 v[191:192], v[167:168], -v[114:115]
	;; [unrolled: 1-line block ×6, first 2 shown]
	v_add_f64 v[128:129], v[136:137], v[128:129]
	v_add_f64 v[130:131], v[138:139], v[130:131]
	;; [unrolled: 1-line block ×4, first 2 shown]
	ds_load_b128 v[108:111], v159
	ds_load_b128 v[112:115], v159 offset:784
	v_mul_f64 v[205:206], v[185:186], s[12:13]
	v_mul_f64 v[144:145], v[144:145], s[22:23]
	;; [unrolled: 1-line block ×8, first 2 shown]
	v_add_f64 v[136:137], v[124:125], -v[136:137]
	v_add_f64 v[138:139], v[126:127], -v[138:139]
	v_mul_f64 v[209:210], v[197:198], s[12:13]
	v_mul_f64 v[211:212], v[199:200], s[12:13]
	v_add_f64 v[165:166], v[169:170], -v[165:166]
	v_add_f64 v[167:168], v[171:172], -v[167:168]
	v_add_f64 v[116:117], v[120:121], v[116:117]
	v_add_f64 v[118:119], v[122:123], v[118:119]
	s_waitcnt lgkmcnt(0)
	s_barrier
	buffer_gl0_inv
	v_add_f64 v[108:109], v[108:109], v[181:182]
	v_add_f64 v[110:111], v[110:111], v[183:184]
	v_mul_f64 v[189:190], v[189:190], s[22:23]
	v_mul_f64 v[191:192], v[191:192], s[22:23]
	;; [unrolled: 1-line block ×6, first 2 shown]
	v_add_f64 v[120:121], v[128:129], v[124:125]
	v_add_f64 v[122:123], v[130:131], v[126:127]
	;; [unrolled: 1-line block ×4, first 2 shown]
	v_fma_f64 v[124:125], v[148:149], s[8:9], v[144:145]
	v_fma_f64 v[126:127], v[150:151], s[8:9], v[146:147]
	v_fma_f64 v[128:129], v[173:174], s[16:17], -v[177:178]
	v_fma_f64 v[130:131], v[175:176], s[16:17], -v[179:180]
	v_fma_f64 v[148:149], v[140:141], s[24:25], v[152:153]
	v_fma_f64 v[150:151], v[142:143], s[24:25], v[154:155]
	;; [unrolled: 1-line block ×4, first 2 shown]
	v_fma_f64 v[144:145], v[173:174], s[18:19], -v[144:145]
	v_fma_f64 v[146:147], v[175:176], s[18:19], -v[146:147]
	;; [unrolled: 1-line block ×4, first 2 shown]
	v_fma_f64 v[177:178], v[181:182], s[14:15], v[108:109]
	v_fma_f64 v[179:180], v[183:184], s[14:15], v[110:111]
	v_fma_f64 v[173:174], v[201:202], s[8:9], v[189:190]
	v_fma_f64 v[175:176], v[203:204], s[8:9], v[191:192]
	v_fma_f64 v[181:182], v[136:137], s[24:25], v[193:194]
	v_fma_f64 v[183:184], v[138:139], s[24:25], v[195:196]
	v_fma_f64 v[185:186], v[197:198], s[28:29], -v[193:194]
	v_fma_f64 v[187:188], v[199:200], s[28:29], -v[195:196]
	v_fma_f64 v[136:137], v[136:137], s[26:27], v[209:210]
	v_fma_f64 v[138:139], v[138:139], s[26:27], v[211:212]
	;; [unrolled: 1-line block ×4, first 2 shown]
	v_fma_f64 v[189:190], v[165:166], s[18:19], -v[189:190]
	v_fma_f64 v[191:192], v[167:168], s[18:19], -v[191:192]
	;; [unrolled: 1-line block ×4, first 2 shown]
	v_fma_f64 v[148:149], v[116:117], s[30:31], v[148:149]
	v_fma_f64 v[150:151], v[118:119], s[30:31], v[150:151]
	;; [unrolled: 1-line block ×6, first 2 shown]
	v_add_f64 v[169:170], v[124:125], v[177:178]
	v_add_f64 v[171:172], v[126:127], v[179:180]
	;; [unrolled: 1-line block ×6, first 2 shown]
	v_fma_f64 v[179:180], v[120:121], s[30:31], v[181:182]
	v_fma_f64 v[181:182], v[122:123], s[30:31], v[183:184]
	;; [unrolled: 1-line block ×6, first 2 shown]
	v_add_f64 v[195:196], v[173:174], v[132:133]
	v_add_f64 v[197:198], v[175:176], v[134:135]
	;; [unrolled: 1-line block ×7, first 2 shown]
	v_add_f64 v[118:119], v[171:172], -v[148:149]
	v_add_f64 v[120:121], v[142:143], v[144:145]
	v_add_f64 v[122:123], v[146:147], -v[140:141]
	v_add_f64 v[124:125], v[128:129], -v[154:155]
	v_add_f64 v[126:127], v[152:153], v[177:178]
	v_add_f64 v[130:131], v[154:155], v[128:129]
	v_add_f64 v[132:133], v[177:178], -v[152:153]
	v_add_f64 v[134:135], v[144:145], -v[142:143]
	v_add_f64 v[136:137], v[140:141], v[146:147]
	v_add_f64 v[138:139], v[169:170], -v[150:151]
	v_add_f64 v[140:141], v[148:149], v[171:172]
	v_add_f64 v[142:143], v[181:182], v[195:196]
	v_add_f64 v[144:145], v[197:198], -v[179:180]
	v_add_f64 v[146:147], v[193:194], v[173:174]
	v_add_f64 v[148:149], v[175:176], -v[187:188]
	v_add_f64 v[150:151], v[165:166], -v[185:186]
	v_add_f64 v[152:153], v[183:184], v[189:190]
	v_add_f64 v[167:168], v[185:186], v[165:166]
	v_add_f64 v[169:170], v[189:190], -v[183:184]
	v_add_f64 v[171:172], v[173:174], -v[193:194]
	v_add_f64 v[173:174], v[187:188], v[175:176]
	v_add_f64 v[175:176], v[195:196], -v[181:182]
	v_add_f64 v[177:178], v[179:180], v[197:198]
	v_mad_u64_u32 v[128:129], null, 0x60, v160, s[10:11]
	v_add_lshl_u32 v166, v107, v104, 4
	v_add_lshl_u32 v165, v106, v105, 4
	ds_store_b128 v166, v[108:111]
	ds_store_b128 v166, v[116:119] offset:112
	ds_store_b128 v166, v[120:123] offset:224
	;; [unrolled: 1-line block ×6, first 2 shown]
	ds_store_b128 v165, v[112:115]
	ds_store_b128 v165, v[142:145] offset:112
	ds_store_b128 v165, v[146:149] offset:224
	ds_store_b128 v165, v[150:153] offset:336
	ds_store_b128 v165, v[167:170] offset:448
	ds_store_b128 v165, v[171:174] offset:560
	ds_store_b128 v165, v[175:178] offset:672
	s_waitcnt lgkmcnt(0)
	s_barrier
	buffer_gl0_inv
	s_clause 0x5
	global_load_b128 v[108:111], v[128:129], off offset:672
	global_load_b128 v[104:107], v[128:129], off offset:688
	;; [unrolled: 1-line block ×6, first 2 shown]
	ds_load_b128 v[130:133], v159 offset:1568
	ds_load_b128 v[134:137], v159 offset:3136
	ds_load_b128 v[138:141], v159 offset:9408
	ds_load_b128 v[142:145], v159 offset:7840
	ds_load_b128 v[146:149], v159 offset:2352
	ds_load_b128 v[150:153], v159 offset:3920
	ds_load_b128 v[167:170], v159 offset:10192
	ds_load_b128 v[171:174], v159 offset:8624
	ds_load_b128 v[175:178], v159 offset:4704
	ds_load_b128 v[179:182], v159 offset:6272
	ds_load_b128 v[183:186], v159 offset:5488
	ds_load_b128 v[187:190], v159 offset:7056
	s_waitcnt vmcnt(5) lgkmcnt(11)
	v_mul_f64 v[154:155], v[132:133], v[110:111]
	v_mul_f64 v[191:192], v[130:131], v[110:111]
	s_waitcnt vmcnt(4) lgkmcnt(10)
	v_mul_f64 v[193:194], v[136:137], v[106:107]
	v_mul_f64 v[195:196], v[134:135], v[106:107]
	;; [unrolled: 3-line block ×4, first 2 shown]
	s_waitcnt lgkmcnt(7)
	v_mul_f64 v[205:206], v[148:149], v[110:111]
	v_mul_f64 v[207:208], v[146:147], v[110:111]
	s_waitcnt lgkmcnt(6)
	v_mul_f64 v[209:210], v[152:153], v[106:107]
	v_mul_f64 v[211:212], v[150:151], v[106:107]
	;; [unrolled: 3-line block ×4, first 2 shown]
	s_waitcnt vmcnt(1) lgkmcnt(3)
	v_mul_f64 v[221:222], v[177:178], v[118:119]
	s_waitcnt vmcnt(0) lgkmcnt(2)
	v_mul_f64 v[225:226], v[181:182], v[114:115]
	v_mul_f64 v[223:224], v[175:176], v[118:119]
	v_fma_f64 v[130:131], v[130:131], v[108:109], -v[154:155]
	v_fma_f64 v[132:133], v[132:133], v[108:109], v[191:192]
	v_mul_f64 v[154:155], v[179:180], v[114:115]
	s_waitcnt lgkmcnt(1)
	v_mul_f64 v[191:192], v[185:186], v[118:119]
	v_fma_f64 v[134:135], v[134:135], v[104:105], -v[193:194]
	v_fma_f64 v[136:137], v[136:137], v[104:105], v[195:196]
	v_mul_f64 v[193:194], v[183:184], v[118:119]
	s_waitcnt lgkmcnt(0)
	v_mul_f64 v[195:196], v[189:190], v[114:115]
	v_fma_f64 v[138:139], v[138:139], v[124:125], -v[197:198]
	v_fma_f64 v[140:141], v[140:141], v[124:125], v[199:200]
	v_mul_f64 v[197:198], v[187:188], v[114:115]
	v_fma_f64 v[142:143], v[142:143], v[120:121], -v[201:202]
	v_fma_f64 v[144:145], v[144:145], v[120:121], v[203:204]
	v_fma_f64 v[146:147], v[146:147], v[108:109], -v[205:206]
	v_fma_f64 v[148:149], v[148:149], v[108:109], v[207:208]
	;; [unrolled: 2-line block ×5, first 2 shown]
	v_fma_f64 v[175:176], v[175:176], v[116:117], -v[221:222]
	v_fma_f64 v[179:180], v[179:180], v[112:113], -v[225:226]
	v_fma_f64 v[177:178], v[177:178], v[116:117], v[223:224]
	v_fma_f64 v[154:155], v[181:182], v[112:113], v[154:155]
	v_fma_f64 v[181:182], v[183:184], v[116:117], -v[191:192]
	v_fma_f64 v[183:184], v[185:186], v[116:117], v[193:194]
	v_fma_f64 v[185:186], v[187:188], v[112:113], -v[195:196]
	v_add_f64 v[191:192], v[132:133], v[140:141]
	v_fma_f64 v[187:188], v[189:190], v[112:113], v[197:198]
	v_add_f64 v[189:190], v[130:131], v[138:139]
	v_add_f64 v[193:194], v[134:135], v[142:143]
	;; [unrolled: 1-line block ×3, first 2 shown]
	v_add_f64 v[134:135], v[134:135], -v[142:143]
	v_add_f64 v[138:139], v[130:131], -v[138:139]
	;; [unrolled: 1-line block ×3, first 2 shown]
	v_add_f64 v[197:198], v[146:147], v[167:168]
	v_add_f64 v[199:200], v[148:149], v[169:170]
	;; [unrolled: 1-line block ×4, first 2 shown]
	v_add_f64 v[140:141], v[132:133], -v[140:141]
	v_add_f64 v[142:143], v[179:180], -v[175:176]
	v_add_f64 v[130:131], v[175:176], v[179:180]
	v_add_f64 v[150:151], v[150:151], -v[171:172]
	v_add_f64 v[152:153], v[152:153], -v[173:174]
	;; [unrolled: 1-line block ×4, first 2 shown]
	v_add_f64 v[175:176], v[177:178], v[154:155]
	v_add_f64 v[154:155], v[154:155], -v[177:178]
	v_add_f64 v[177:178], v[181:182], v[185:186]
	v_add_f64 v[171:172], v[185:186], -v[181:182]
	;; [unrolled: 2-line block ×3, first 2 shown]
	v_add_f64 v[136:137], v[193:194], v[189:190]
	v_add_f64 v[205:206], v[195:196], v[191:192]
	v_add_f64 v[169:170], v[134:135], -v[138:139]
	v_add_f64 v[207:208], v[201:202], v[197:198]
	v_add_f64 v[209:210], v[203:204], v[199:200]
	v_add_f64 v[215:216], v[144:145], -v[140:141]
	v_add_f64 v[167:168], v[142:143], -v[134:135]
	;; [unrolled: 1-line block ×3, first 2 shown]
	v_add_f64 v[213:214], v[142:143], v[134:135]
	v_add_f64 v[211:212], v[130:131], -v[193:194]
	v_add_f64 v[225:226], v[150:151], -v[146:147]
	;; [unrolled: 1-line block ×7, first 2 shown]
	v_add_f64 v[144:145], v[154:155], v[144:145]
	v_add_f64 v[191:192], v[195:196], -v[191:192]
	v_add_f64 v[154:155], v[140:141], -v[154:155]
	;; [unrolled: 1-line block ×4, first 2 shown]
	v_add_f64 v[150:151], v[171:172], v[150:151]
	v_add_f64 v[219:220], v[199:200], -v[179:180]
	v_add_f64 v[223:224], v[173:174], -v[152:153]
	v_add_f64 v[187:188], v[130:131], v[136:137]
	v_add_f64 v[205:206], v[175:176], v[205:206]
	v_add_f64 v[175:176], v[175:176], -v[195:196]
	v_add_f64 v[152:153], v[173:174], v[152:153]
	v_mul_f64 v[195:196], v[169:170], s[12:13]
	ds_load_b128 v[130:133], v159
	ds_load_b128 v[134:137], v159 offset:784
	v_add_f64 v[197:198], v[201:202], -v[197:198]
	v_add_f64 v[207:208], v[177:178], v[207:208]
	v_add_f64 v[209:210], v[179:180], v[209:210]
	v_add_f64 v[177:178], v[177:178], -v[201:202]
	v_mul_f64 v[167:168], v[167:168], s[20:21]
	v_add_f64 v[179:180], v[179:180], -v[203:204]
	v_mul_f64 v[181:182], v[181:182], s[22:23]
	v_add_f64 v[138:139], v[213:214], v[138:139]
	v_mul_f64 v[213:214], v[215:216], s[12:13]
	v_add_f64 v[199:200], v[203:204], -v[199:200]
	v_mul_f64 v[201:202], v[211:212], s[8:9]
	v_add_f64 v[171:172], v[146:147], -v[171:172]
	v_add_f64 v[173:174], v[148:149], -v[173:174]
	s_waitcnt lgkmcnt(0)
	s_barrier
	buffer_gl0_inv
	v_mul_f64 v[183:184], v[183:184], s[22:23]
	v_mul_f64 v[185:186], v[185:186], s[20:21]
	v_add_f64 v[140:141], v[144:145], v[140:141]
	v_mul_f64 v[144:145], v[225:226], s[12:13]
	v_mul_f64 v[217:218], v[217:218], s[22:23]
	;; [unrolled: 1-line block ×3, first 2 shown]
	v_add_f64 v[146:147], v[150:151], v[146:147]
	v_mul_f64 v[219:220], v[219:220], s[22:23]
	v_mul_f64 v[223:224], v[223:224], s[20:21]
	v_add_f64 v[130:131], v[130:131], v[187:188]
	v_add_f64 v[132:133], v[132:133], v[205:206]
	v_mul_f64 v[203:204], v[175:176], s[8:9]
	v_mul_f64 v[150:151], v[193:194], s[12:13]
	v_add_f64 v[148:149], v[152:153], v[148:149]
	s_mov_b32 s21, 0x3fe11646
	v_add_f64 v[134:135], v[134:135], v[207:208]
	v_add_f64 v[136:137], v[136:137], v[209:210]
	v_mul_f64 v[152:153], v[177:178], s[8:9]
	v_fma_f64 v[169:170], v[169:170], s[28:29], -v[167:168]
	v_fma_f64 v[167:168], v[142:143], s[24:25], v[167:168]
	v_fma_f64 v[142:143], v[142:143], s[26:27], v[195:196]
	v_mul_f64 v[195:196], v[179:180], s[8:9]
	v_fma_f64 v[211:212], v[211:212], s[8:9], v[181:182]
	v_fma_f64 v[181:182], v[189:190], s[18:19], -v[181:182]
	v_fma_f64 v[201:202], v[189:190], s[16:17], -v[201:202]
	v_fma_f64 v[175:176], v[175:176], s[8:9], v[183:184]
	v_fma_f64 v[215:216], v[215:216], s[28:29], -v[185:186]
	v_fma_f64 v[185:186], v[154:155], s[24:25], v[185:186]
	v_fma_f64 v[154:155], v[154:155], s[26:27], v[213:214]
	v_fma_f64 v[183:184], v[191:192], s[18:19], -v[183:184]
	v_fma_f64 v[177:178], v[177:178], s[8:9], v[217:218]
	v_fma_f64 v[189:190], v[171:172], s[24:25], v[221:222]
	;; [unrolled: 1-line block ×4, first 2 shown]
	v_fma_f64 v[213:214], v[225:226], s[28:29], -v[221:222]
	v_fma_f64 v[187:188], v[187:188], s[14:15], v[130:131]
	v_fma_f64 v[205:206], v[205:206], s[14:15], v[132:133]
	v_fma_f64 v[203:204], v[191:192], s[16:17], -v[203:204]
	v_fma_f64 v[191:192], v[173:174], s[24:25], v[223:224]
	v_fma_f64 v[150:151], v[173:174], s[26:27], v[150:151]
	;; [unrolled: 3-line block ×3, first 2 shown]
	v_fma_f64 v[207:208], v[197:198], s[18:19], -v[217:218]
	v_fma_f64 v[209:210], v[199:200], s[18:19], -v[219:220]
	;; [unrolled: 1-line block ×3, first 2 shown]
	v_fma_f64 v[197:198], v[138:139], s[30:31], v[167:168]
	v_fma_f64 v[195:196], v[199:200], s[16:17], -v[195:196]
	v_fma_f64 v[199:200], v[138:139], s[30:31], v[142:143]
	v_fma_f64 v[167:168], v[138:139], s[30:31], v[169:170]
	;; [unrolled: 1-line block ×5, first 2 shown]
	v_add_f64 v[211:212], v[211:212], v[187:188]
	v_add_f64 v[175:176], v[175:176], v[205:206]
	;; [unrolled: 1-line block ×6, first 2 shown]
	v_fma_f64 v[203:204], v[146:147], s[30:31], v[189:190]
	v_fma_f64 v[205:206], v[148:149], s[30:31], v[191:192]
	v_add_f64 v[215:216], v[177:178], v[171:172]
	v_add_f64 v[217:218], v[179:180], v[173:174]
	v_fma_f64 v[189:190], v[146:147], s[30:31], v[213:214]
	v_fma_f64 v[191:192], v[148:149], s[30:31], v[193:194]
	;; [unrolled: 1-line block ×4, first 2 shown]
	v_add_f64 v[207:208], v[207:208], v[171:172]
	v_add_f64 v[209:210], v[209:210], v[173:174]
	;; [unrolled: 1-line block ×4, first 2 shown]
	s_mov_b32 s31, 0xbfdc38aa
	v_add_f64 v[138:139], v[185:186], v[211:212]
	v_add_f64 v[140:141], v[175:176], -v[197:198]
	v_add_f64 v[142:143], v[154:155], v[181:182]
	v_add_f64 v[144:145], v[183:184], -v[199:200]
	v_add_f64 v[146:147], v[187:188], -v[169:170]
	v_add_f64 v[148:149], v[167:168], v[201:202]
	v_add_f64 v[150:151], v[169:170], v[187:188]
	v_add_f64 v[152:153], v[201:202], -v[167:168]
	v_add_f64 v[167:168], v[181:182], -v[154:155]
	v_add_f64 v[169:170], v[199:200], v[183:184]
	v_add_f64 v[171:172], v[211:212], -v[185:186]
	v_add_f64 v[173:174], v[197:198], v[175:176]
	v_add_f64 v[175:176], v[205:206], v[215:216]
	v_add_f64 v[177:178], v[217:218], -v[203:204]
	v_add_f64 v[179:180], v[213:214], v[207:208]
	v_add_f64 v[181:182], v[209:210], -v[193:194]
	v_add_f64 v[183:184], v[219:220], -v[191:192]
	v_add_f64 v[185:186], v[189:190], v[195:196]
	v_add_f64 v[187:188], v[191:192], v[219:220]
	v_add_f64 v[189:190], v[195:196], -v[189:190]
	v_add_f64 v[191:192], v[207:208], -v[213:214]
	v_add_f64 v[193:194], v[193:194], v[209:210]
	v_add_f64 v[195:196], v[215:216], -v[205:206]
	v_add_f64 v[197:198], v[203:204], v[217:218]
	v_mul_i32_i24_e32 v154, 0xffffffb0, v160
	v_mul_hi_i32_i24_e32 v155, 0xffffffb0, v160
	ds_store_b128 v159, v[130:133]
	ds_store_b128 v159, v[134:137] offset:5488
	ds_store_b128 v159, v[138:141] offset:784
	ds_store_b128 v159, v[142:145] offset:1568
	ds_store_b128 v159, v[146:149] offset:2352
	ds_store_b128 v159, v[150:153] offset:3136
	ds_store_b128 v159, v[167:170] offset:3920
	ds_store_b128 v159, v[171:174] offset:4704
	ds_store_b128 v159, v[175:178] offset:6272
	ds_store_b128 v159, v[179:182] offset:7056
	ds_store_b128 v159, v[183:186] offset:7840
	ds_store_b128 v159, v[187:190] offset:8624
	ds_store_b128 v159, v[191:194] offset:9408
	ds_store_b128 v159, v[195:198] offset:10192
	v_add_co_u32 v154, vcc_lo, v128, v154
	v_add_co_ci_u32_e32 v155, vcc_lo, v129, v155, vcc_lo
	s_waitcnt lgkmcnt(0)
	s_delay_alu instid0(VALU_DEP_2) | instskip(NEXT) | instid1(VALU_DEP_2)
	v_add_co_u32 v128, vcc_lo, 0x1000, v154
	v_add_co_ci_u32_e32 v129, vcc_lo, 0, v155, vcc_lo
	v_add_co_u32 v154, s2, 0x2000, v154
	s_barrier
	buffer_gl0_inv
	s_clause 0x1
	global_load_b128 v[144:147], v[128:129], off offset:1280
	global_load_b128 v[132:135], v[128:129], off offset:2064
	v_add_co_ci_u32_e64 v155, vcc_lo, 0, v155, s2
	s_clause 0x4
	global_load_b128 v[136:139], v[128:129], off offset:2848
	global_load_b128 v[128:131], v[128:129], off offset:3632
	global_load_b128 v[140:143], v[154:155], off offset:320
	global_load_b128 v[148:151], v[154:155], off offset:1104
	global_load_b128 v[152:155], v[154:155], off offset:1888
	ds_load_b128 v[167:170], v159 offset:5488
	ds_load_b128 v[171:174], v159 offset:6272
	;; [unrolled: 1-line block ×7, first 2 shown]
	s_mul_i32 s2, s5, 0x620
	s_waitcnt vmcnt(6) lgkmcnt(6)
	v_mul_f64 v[195:196], v[169:170], v[146:147]
	v_mul_f64 v[197:198], v[167:168], v[146:147]
	s_waitcnt vmcnt(5) lgkmcnt(5)
	v_mul_f64 v[199:200], v[173:174], v[134:135]
	v_mul_f64 v[201:202], v[171:172], v[134:135]
	;; [unrolled: 3-line block ×7, first 2 shown]
	v_fma_f64 v[195:196], v[167:168], v[144:145], -v[195:196]
	v_fma_f64 v[197:198], v[169:170], v[144:145], v[197:198]
	v_fma_f64 v[199:200], v[171:172], v[132:133], -v[199:200]
	v_fma_f64 v[201:202], v[173:174], v[132:133], v[201:202]
	;; [unrolled: 2-line block ×7, first 2 shown]
	ds_load_b128 v[167:170], v159
	ds_load_b128 v[171:174], v159 offset:784
	ds_load_b128 v[175:178], v159 offset:1568
	;; [unrolled: 1-line block ×6, first 2 shown]
	s_waitcnt lgkmcnt(6)
	v_add_f64 v[195:196], v[167:168], -v[195:196]
	v_add_f64 v[197:198], v[169:170], -v[197:198]
	s_waitcnt lgkmcnt(5)
	v_add_f64 v[199:200], v[171:172], -v[199:200]
	v_add_f64 v[201:202], v[173:174], -v[201:202]
	;; [unrolled: 3-line block ×7, first 2 shown]
	v_fma_f64 v[167:168], v[167:168], 2.0, -v[195:196]
	v_fma_f64 v[169:170], v[169:170], 2.0, -v[197:198]
	;; [unrolled: 1-line block ×14, first 2 shown]
	ds_store_b128 v159, v[199:202] offset:6272
	ds_store_b128 v159, v[203:206] offset:7056
	;; [unrolled: 1-line block ×7, first 2 shown]
	ds_store_b128 v159, v[167:170]
	ds_store_b128 v159, v[171:174] offset:784
	ds_store_b128 v159, v[175:178] offset:1568
	ds_store_b128 v159, v[179:182] offset:2352
	ds_store_b128 v159, v[183:186] offset:3136
	ds_store_b128 v159, v[187:190] offset:3920
	ds_store_b128 v159, v[191:194] offset:4704
	s_waitcnt lgkmcnt(0)
	s_barrier
	buffer_gl0_inv
	global_load_b128 v[167:170], v[157:158], off offset:2784
	v_add_co_u32 v157, vcc_lo, 0x2ae0, v161
	v_add_co_ci_u32_e32 v158, vcc_lo, 0, v162, vcc_lo
	s_clause 0x1
	global_load_b128 v[171:174], v[157:158], off offset:1568
	global_load_b128 v[175:178], v[157:158], off offset:3136
	v_add_co_u32 v179, vcc_lo, 0x3000, v161
	v_add_co_ci_u32_e32 v180, vcc_lo, 0, v162, vcc_lo
	v_add_co_u32 v219, vcc_lo, 0x4000, v161
	v_add_co_ci_u32_e32 v220, vcc_lo, 0, v162, vcc_lo
	s_clause 0x4
	global_load_b128 v[179:182], v[179:180], off offset:3392
	global_load_b128 v[183:186], v[219:220], off offset:864
	;; [unrolled: 1-line block ×5, first 2 shown]
	ds_load_b128 v[199:202], v159
	ds_load_b128 v[203:206], v159 offset:1568
	global_load_b128 v[207:210], v[157:158], off offset:2352
	ds_load_b128 v[211:214], v159 offset:3136
	v_add_co_u32 v161, vcc_lo, 0x5000, v161
	v_add_co_ci_u32_e32 v162, vcc_lo, 0, v162, vcc_lo
	ds_load_b128 v[223:226], v159 offset:10192
	s_waitcnt vmcnt(8) lgkmcnt(3)
	v_mul_f64 v[215:216], v[201:202], v[169:170]
	v_mul_f64 v[169:170], v[199:200], v[169:170]
	s_waitcnt vmcnt(7) lgkmcnt(2)
	v_mul_f64 v[217:218], v[205:206], v[173:174]
	v_mul_f64 v[173:174], v[203:204], v[173:174]
	s_delay_alu instid0(VALU_DEP_4) | instskip(NEXT) | instid1(VALU_DEP_4)
	v_fma_f64 v[199:200], v[199:200], v[167:168], -v[215:216]
	v_fma_f64 v[201:202], v[201:202], v[167:168], v[169:170]
	ds_load_b128 v[167:170], v159 offset:4704
	s_waitcnt vmcnt(6) lgkmcnt(2)
	v_mul_f64 v[215:216], v[213:214], v[177:178]
	v_mul_f64 v[177:178], v[211:212], v[177:178]
	v_fma_f64 v[203:204], v[203:204], v[171:172], -v[217:218]
	v_fma_f64 v[205:206], v[205:206], v[171:172], v[173:174]
	global_load_b128 v[171:174], v[157:158], off offset:3920
	s_waitcnt vmcnt(6) lgkmcnt(0)
	v_mul_f64 v[157:158], v[169:170], v[181:182]
	v_mul_f64 v[181:182], v[167:168], v[181:182]
	v_fma_f64 v[211:212], v[211:212], v[175:176], -v[215:216]
	v_fma_f64 v[213:214], v[213:214], v[175:176], v[177:178]
	ds_load_b128 v[175:178], v159 offset:6272
	global_load_b128 v[215:218], v[219:220], off offset:80
	v_fma_f64 v[167:168], v[167:168], v[179:180], -v[157:158]
	v_fma_f64 v[169:170], v[169:170], v[179:180], v[181:182]
	ds_load_b128 v[179:182], v159 offset:7840
	s_waitcnt vmcnt(6) lgkmcnt(1)
	v_mul_f64 v[221:222], v[177:178], v[185:186]
	v_mul_f64 v[185:186], v[175:176], v[185:186]
	s_waitcnt vmcnt(5) lgkmcnt(0)
	v_mul_f64 v[157:158], v[181:182], v[189:190]
	v_mul_f64 v[189:190], v[179:180], v[189:190]
	s_delay_alu instid0(VALU_DEP_4) | instskip(NEXT) | instid1(VALU_DEP_4)
	v_fma_f64 v[175:176], v[175:176], v[183:184], -v[221:222]
	v_fma_f64 v[177:178], v[177:178], v[183:184], v[185:186]
	ds_load_b128 v[183:186], v159 offset:9408
	v_fma_f64 v[179:180], v[179:180], v[187:188], -v[157:158]
	v_fma_f64 v[181:182], v[181:182], v[187:188], v[189:190]
	global_load_b128 v[187:190], v[219:220], off offset:1648
	s_waitcnt vmcnt(5) lgkmcnt(0)
	v_mul_f64 v[157:158], v[185:186], v[193:194]
	v_mul_f64 v[193:194], v[183:184], v[193:194]
	global_load_b128 v[219:222], v[219:220], off offset:3216
	v_fma_f64 v[183:184], v[183:184], v[191:192], -v[157:158]
	v_fma_f64 v[185:186], v[185:186], v[191:192], v[193:194]
	ds_load_b128 v[191:194], v159 offset:784
	s_waitcnt vmcnt(5) lgkmcnt(0)
	v_mul_f64 v[157:158], v[193:194], v[197:198]
	v_mul_f64 v[197:198], v[191:192], v[197:198]
	s_delay_alu instid0(VALU_DEP_2) | instskip(NEXT) | instid1(VALU_DEP_2)
	v_fma_f64 v[191:192], v[191:192], v[195:196], -v[157:158]
	v_fma_f64 v[193:194], v[193:194], v[195:196], v[197:198]
	ds_load_b128 v[195:198], v159 offset:2352
	s_waitcnt vmcnt(4) lgkmcnt(0)
	v_mul_f64 v[157:158], v[197:198], v[209:210]
	v_mul_f64 v[209:210], v[195:196], v[209:210]
	s_delay_alu instid0(VALU_DEP_2) | instskip(NEXT) | instid1(VALU_DEP_2)
	;; [unrolled: 7-line block ×6, first 2 shown]
	v_fma_f64 v[187:188], v[187:188], v[219:220], -v[157:158]
	v_fma_f64 v[189:190], v[189:190], v[219:220], v[221:222]
	global_load_b128 v[219:222], v[161:162], off offset:688
	s_waitcnt vmcnt(0)
	v_mul_f64 v[157:158], v[225:226], v[221:222]
	v_mul_f64 v[161:162], v[223:224], v[221:222]
	s_delay_alu instid0(VALU_DEP_2) | instskip(NEXT) | instid1(VALU_DEP_2)
	v_fma_f64 v[221:222], v[223:224], v[219:220], -v[157:158]
	v_fma_f64 v[223:224], v[225:226], v[219:220], v[161:162]
	ds_store_b128 v159, v[199:202]
	ds_store_b128 v159, v[191:194] offset:784
	ds_store_b128 v159, v[203:206] offset:1568
	;; [unrolled: 1-line block ×13, first 2 shown]
	s_waitcnt lgkmcnt(0)
	s_barrier
	buffer_gl0_inv
	ds_load_b128 v[167:170], v159 offset:9408
	ds_load_b128 v[171:174], v159 offset:1568
	;; [unrolled: 1-line block ×11, first 2 shown]
	s_waitcnt lgkmcnt(9)
	v_add_f64 v[157:158], v[171:172], v[167:168]
	v_add_f64 v[161:162], v[173:174], v[169:170]
	s_waitcnt lgkmcnt(7)
	v_add_f64 v[211:212], v[175:176], v[179:180]
	v_add_f64 v[213:214], v[177:178], v[181:182]
	;; [unrolled: 3-line block ×4, first 2 shown]
	v_add_f64 v[223:224], v[171:172], -v[167:168]
	v_add_f64 v[225:226], v[173:174], -v[169:170]
	ds_load_b128 v[167:170], v159 offset:7056
	v_add_f64 v[175:176], v[175:176], -v[179:180]
	v_add_f64 v[177:178], v[177:178], -v[181:182]
	s_waitcnt lgkmcnt(2)
	v_add_f64 v[179:180], v[203:204], v[199:200]
	v_add_f64 v[181:182], v[205:206], v[201:202]
	v_add_f64 v[199:200], v[199:200], -v[203:204]
	v_add_f64 v[183:184], v[183:184], -v[187:188]
	;; [unrolled: 1-line block ×6, first 2 shown]
	s_waitcnt lgkmcnt(0)
	v_add_f64 v[203:204], v[207:208], v[167:168]
	v_add_f64 v[187:188], v[209:210], v[169:170]
	v_add_f64 v[207:208], v[167:168], -v[207:208]
	v_add_f64 v[209:210], v[169:170], -v[209:210]
	ds_load_b128 v[167:170], v159
	v_add_f64 v[171:172], v[211:212], v[157:158]
	v_add_f64 v[173:174], v[213:214], v[161:162]
	v_add_f64 v[227:228], v[211:212], -v[157:158]
	v_add_f64 v[193:194], v[219:220], v[215:216]
	v_add_f64 v[195:196], v[221:222], v[217:218]
	v_add_f64 v[157:158], v[157:158], -v[179:180]
	v_add_f64 v[229:230], v[199:200], -v[175:176]
	;; [unrolled: 1-line block ×5, first 2 shown]
	v_add_f64 v[197:198], v[179:180], v[171:172]
	v_add_f64 v[205:206], v[181:182], v[173:174]
	ds_load_b128 v[171:174], v159 offset:784
	v_add_f64 v[179:180], v[179:180], -v[211:212]
	v_add_f64 v[193:194], v[203:204], v[193:194]
	v_add_f64 v[195:196], v[187:188], v[195:196]
	v_add_f64 v[211:212], v[213:214], -v[161:162]
	v_add_f64 v[161:162], v[161:162], -v[181:182]
	;; [unrolled: 1-line block ×9, first 2 shown]
	v_add_f64 v[221:222], v[199:200], v[175:176]
	v_add_f64 v[199:200], v[223:224], -v[199:200]
	v_add_f64 v[175:176], v[175:176], -v[223:224]
	v_mul_f64 v[157:158], v[157:158], s[22:23]
	s_waitcnt lgkmcnt(0)
	s_barrier
	buffer_gl0_inv
	v_add_f64 v[167:168], v[167:168], v[197:198]
	v_add_f64 v[169:170], v[169:170], v[205:206]
	;; [unrolled: 1-line block ×4, first 2 shown]
	v_mul_f64 v[161:162], v[161:162], s[22:23]
	v_mul_f64 v[215:216], v[215:216], s[22:23]
	v_add_f64 v[221:222], v[221:222], v[223:224]
	v_add_f64 v[223:224], v[201:202], v[177:178]
	v_add_f64 v[201:202], v[225:226], -v[201:202]
	v_add_f64 v[177:178], v[177:178], -v[225:226]
	s_delay_alu instid0(VALU_DEP_3) | instskip(SKIP_3) | instid1(VALU_DEP_3)
	v_add_f64 v[223:224], v[223:224], v[225:226]
	v_add_f64 v[225:226], v[207:208], v[189:190]
	v_add_f64 v[207:208], v[183:184], -v[207:208]
	v_add_f64 v[189:190], v[189:190], -v[183:184]
	v_add_f64 v[183:184], v[225:226], v[183:184]
	v_add_f64 v[225:226], v[209:210], v[191:192]
	v_add_f64 v[209:210], v[185:186], -v[209:210]
	v_add_f64 v[191:192], v[191:192], -v[185:186]
	s_delay_alu instid0(VALU_DEP_3) | instskip(SKIP_3) | instid1(VALU_DEP_3)
	v_add_f64 v[185:186], v[225:226], v[185:186]
	v_mul_f64 v[225:226], v[179:180], s[8:9]
	v_fma_f64 v[179:180], v[179:180], s[8:9], v[157:158]
	v_fma_f64 v[157:158], v[227:228], s[18:19], -v[157:158]
	v_fma_f64 v[225:226], v[227:228], s[16:17], -v[225:226]
	v_mul_f64 v[227:228], v[181:182], s[8:9]
	v_fma_f64 v[181:182], v[181:182], s[8:9], v[161:162]
	v_fma_f64 v[161:162], v[211:212], s[18:19], -v[161:162]
	s_delay_alu instid0(VALU_DEP_3) | instskip(SKIP_2) | instid1(VALU_DEP_2)
	v_fma_f64 v[227:228], v[211:212], s[16:17], -v[227:228]
	v_mul_f64 v[211:212], v[229:230], s[20:21]
	v_mul_f64 v[229:230], v[175:176], s[28:29]
	v_fma_f64 v[175:176], v[175:176], s[12:13], -v[211:212]
	v_fma_f64 v[211:212], v[199:200], s[26:27], v[211:212]
	s_delay_alu instid0(VALU_DEP_3) | instskip(SKIP_2) | instid1(VALU_DEP_4)
	v_fma_f64 v[199:200], v[199:200], s[24:25], v[229:230]
	v_mul_f64 v[229:230], v[231:232], s[20:21]
	v_mul_f64 v[231:232], v[177:178], s[28:29]
	v_fma_f64 v[211:212], v[221:222], s[30:31], v[211:212]
	s_delay_alu instid0(VALU_DEP_4) | instskip(NEXT) | instid1(VALU_DEP_4)
	v_fma_f64 v[199:200], v[221:222], s[30:31], v[199:200]
	v_fma_f64 v[177:178], v[177:178], s[12:13], -v[229:230]
	v_fma_f64 v[229:230], v[201:202], s[26:27], v[229:230]
	v_fma_f64 v[201:202], v[201:202], s[24:25], v[231:232]
	v_mul_f64 v[231:232], v[203:204], s[8:9]
	v_fma_f64 v[203:204], v[203:204], s[8:9], v[215:216]
	s_delay_alu instid0(VALU_DEP_3) | instskip(NEXT) | instid1(VALU_DEP_3)
	v_fma_f64 v[201:202], v[223:224], s[30:31], v[201:202]
	v_fma_f64 v[231:232], v[213:214], s[16:17], -v[231:232]
	v_fma_f64 v[213:214], v[213:214], s[18:19], -v[215:216]
	v_mul_f64 v[215:216], v[217:218], s[22:23]
	v_mul_f64 v[217:218], v[187:188], s[8:9]
	s_delay_alu instid0(VALU_DEP_2) | instskip(NEXT) | instid1(VALU_DEP_2)
	v_fma_f64 v[187:188], v[187:188], s[8:9], v[215:216]
	v_fma_f64 v[217:218], v[219:220], s[16:17], -v[217:218]
	v_fma_f64 v[215:216], v[219:220], s[18:19], -v[215:216]
	v_mul_f64 v[219:220], v[233:234], s[20:21]
	v_mul_f64 v[233:234], v[189:190], s[28:29]
	s_delay_alu instid0(VALU_DEP_2) | instskip(SKIP_1) | instid1(VALU_DEP_3)
	v_fma_f64 v[189:190], v[189:190], s[12:13], -v[219:220]
	v_fma_f64 v[219:220], v[207:208], s[26:27], v[219:220]
	v_fma_f64 v[207:208], v[207:208], s[24:25], v[233:234]
	v_mul_f64 v[233:234], v[235:236], s[20:21]
	v_mul_f64 v[235:236], v[191:192], s[28:29]
	s_delay_alu instid0(VALU_DEP_3) | instskip(NEXT) | instid1(VALU_DEP_3)
	v_fma_f64 v[243:244], v[183:184], s[30:31], v[207:208]
	v_fma_f64 v[191:192], v[191:192], s[12:13], -v[233:234]
	v_fma_f64 v[233:234], v[209:210], s[26:27], v[233:234]
	s_delay_alu instid0(VALU_DEP_4)
	v_fma_f64 v[209:210], v[209:210], s[24:25], v[235:236]
	v_fma_f64 v[235:236], v[221:222], s[30:31], v[175:176]
	;; [unrolled: 1-line block ×8, first 2 shown]
	v_add_f64 v[197:198], v[179:180], v[175:176]
	v_add_f64 v[157:158], v[157:158], v[175:176]
	;; [unrolled: 1-line block ×3, first 2 shown]
	v_fma_f64 v[175:176], v[205:206], s[14:15], v[169:170]
	v_add_f64 v[241:242], v[187:188], v[177:178]
	v_add_f64 v[249:250], v[215:216], v[177:178]
	;; [unrolled: 1-line block ×3, first 2 shown]
	v_add_f64 v[195:196], v[197:198], -v[221:222]
	v_add_f64 v[187:188], v[157:158], v[201:202]
	v_add_f64 v[179:180], v[223:224], -v[229:230]
	v_add_f64 v[205:206], v[181:182], v[175:176]
	v_add_f64 v[161:162], v[161:162], v[175:176]
	;; [unrolled: 1-line block ×3, first 2 shown]
	v_fma_f64 v[175:176], v[193:194], s[14:15], v[171:172]
	v_fma_f64 v[227:228], v[183:184], s[30:31], v[219:220]
	;; [unrolled: 1-line block ×4, first 2 shown]
	v_add_f64 v[183:184], v[223:224], v[229:230]
	v_add_f64 v[191:192], v[157:158], -v[201:202]
	v_add_f64 v[177:178], v[205:206], -v[211:212]
	;; [unrolled: 1-line block ×3, first 2 shown]
	v_add_f64 v[181:182], v[235:236], v[225:226]
	v_add_f64 v[239:240], v[203:204], v[175:176]
	;; [unrolled: 1-line block ×5, first 2 shown]
	v_add_f64 v[185:186], v[225:226], -v[235:236]
	v_add_f64 v[193:194], v[199:200], v[161:162]
	v_add_f64 v[197:198], v[211:212], v[205:206]
	v_add_f64 v[201:202], v[241:242], -v[227:228]
	v_add_f64 v[213:214], v[249:250], -v[243:244]
	v_add_f64 v[205:206], v[233:234], v[217:218]
	v_add_f64 v[209:210], v[217:218], -v[233:234]
	v_add_f64 v[217:218], v[243:244], v[249:250]
	v_add_f64 v[221:222], v[227:228], v[241:242]
	;; [unrolled: 1-line block ×4, first 2 shown]
	v_add_f64 v[203:204], v[231:232], -v[237:238]
	v_add_f64 v[207:208], v[231:232], v[237:238]
	v_add_f64 v[215:216], v[247:248], -v[245:246]
	v_add_f64 v[219:220], v[239:240], -v[219:220]
	ds_store_b128 v164, v[167:170]
	ds_store_b128 v164, v[175:178] offset:16
	ds_store_b128 v164, v[187:190] offset:32
	;; [unrolled: 1-line block ×6, first 2 shown]
	ds_store_b128 v163, v[171:174]
	ds_store_b128 v163, v[199:202] offset:16
	ds_store_b128 v163, v[211:214] offset:32
	;; [unrolled: 1-line block ×6, first 2 shown]
	s_waitcnt lgkmcnt(0)
	s_barrier
	buffer_gl0_inv
	ds_load_b128 v[161:164], v159 offset:1568
	ds_load_b128 v[167:170], v159 offset:3136
	;; [unrolled: 1-line block ×10, first 2 shown]
	s_waitcnt lgkmcnt(9)
	v_mul_f64 v[157:158], v[78:79], v[163:164]
	v_mul_f64 v[78:79], v[78:79], v[161:162]
	s_waitcnt lgkmcnt(8)
	v_mul_f64 v[203:204], v[66:67], v[169:170]
	v_mul_f64 v[66:67], v[66:67], v[167:168]
	;; [unrolled: 3-line block ×7, first 2 shown]
	v_fma_f64 v[157:158], v[76:77], v[161:162], v[157:158]
	s_waitcnt lgkmcnt(2)
	v_mul_f64 v[161:162], v[102:103], v[193:194]
	v_mul_f64 v[102:103], v[102:103], v[191:192]
	v_fma_f64 v[78:79], v[76:77], v[163:164], -v[78:79]
	v_fma_f64 v[163:164], v[64:65], v[167:168], v[203:204]
	v_fma_f64 v[66:67], v[64:65], v[169:170], -v[66:67]
	ds_load_b128 v[62:65], v159 offset:5488
	ds_load_b128 v[74:77], v159 offset:7056
	s_waitcnt lgkmcnt(3)
	v_mul_f64 v[167:168], v[98:99], v[197:198]
	v_fma_f64 v[169:170], v[60:61], v[171:172], v[205:206]
	v_fma_f64 v[60:61], v[60:61], v[173:174], -v[207:208]
	v_mul_f64 v[98:99], v[98:99], v[195:196]
	s_waitcnt lgkmcnt(2)
	v_mul_f64 v[171:172], v[94:95], v[201:202]
	v_mul_f64 v[94:95], v[94:95], v[199:200]
	v_fma_f64 v[173:174], v[56:57], v[175:176], v[209:210]
	v_fma_f64 v[56:57], v[56:57], v[177:178], -v[58:59]
	v_fma_f64 v[177:178], v[72:73], v[179:180], v[211:212]
	v_fma_f64 v[72:73], v[72:73], v[181:182], -v[213:214]
	;; [unrolled: 2-line block ×4, first 2 shown]
	s_waitcnt lgkmcnt(1)
	v_mul_f64 v[58:59], v[86:87], v[64:65]
	v_mul_f64 v[86:87], v[86:87], v[62:63]
	s_waitcnt lgkmcnt(0)
	v_mul_f64 v[175:176], v[82:83], v[76:77]
	v_mul_f64 v[82:83], v[82:83], v[74:75]
	v_fma_f64 v[90:91], v[100:101], v[191:192], v[161:162]
	v_fma_f64 v[100:101], v[100:101], v[193:194], -v[102:103]
	v_fma_f64 v[102:103], v[96:97], v[195:196], v[167:168]
	v_add_f64 v[161:162], v[78:79], v[60:61]
	v_fma_f64 v[96:97], v[96:97], v[197:198], -v[98:99]
	v_fma_f64 v[98:99], v[92:93], v[199:200], v[171:172]
	v_fma_f64 v[92:93], v[92:93], v[201:202], -v[94:95]
	v_add_f64 v[94:95], v[157:158], v[169:170]
	v_add_f64 v[167:168], v[163:164], v[173:174]
	;; [unrolled: 1-line block ×3, first 2 shown]
	v_add_f64 v[163:164], v[163:164], -v[173:174]
	v_add_f64 v[66:67], v[66:67], -v[56:57]
	;; [unrolled: 1-line block ×3, first 2 shown]
	v_fma_f64 v[58:59], v[84:85], v[62:63], v[58:59]
	v_fma_f64 v[62:63], v[84:85], v[64:65], -v[86:87]
	v_fma_f64 v[64:65], v[80:81], v[74:75], v[175:176]
	v_fma_f64 v[74:75], v[80:81], v[76:77], -v[82:83]
	v_add_f64 v[76:77], v[177:178], v[70:71]
	v_add_f64 v[80:81], v[72:73], v[88:89]
	v_add_f64 v[70:71], v[177:178], -v[70:71]
	v_add_f64 v[72:73], v[72:73], -v[88:89]
	v_add_f64 v[82:83], v[179:180], v[90:91]
	v_add_f64 v[84:85], v[68:69], v[100:101]
	v_add_f64 v[90:91], v[179:180], -v[90:91]
	v_add_f64 v[68:69], v[68:69], -v[100:101]
	;; [unrolled: 4-line block ×3, first 2 shown]
	v_add_f64 v[96:97], v[157:158], -v[169:170]
	v_add_f64 v[56:57], v[167:168], v[94:95]
	v_add_f64 v[60:61], v[171:172], v[161:162]
	v_add_f64 v[183:184], v[66:67], -v[78:79]
	v_add_f64 v[100:101], v[58:59], v[64:65]
	v_add_f64 v[102:103], v[62:63], v[74:75]
	v_add_f64 v[64:65], v[64:65], -v[58:59]
	v_add_f64 v[74:75], v[74:75], -v[62:63]
	v_add_f64 v[58:59], v[82:83], v[76:77]
	v_add_f64 v[62:63], v[84:85], v[80:81]
	v_add_f64 v[193:194], v[90:91], -v[70:71]
	v_add_f64 v[195:196], v[68:69], -v[72:73]
	;; [unrolled: 1-line block ×9, first 2 shown]
	v_add_f64 v[86:87], v[86:87], v[56:57]
	v_add_f64 v[175:176], v[175:176], v[60:61]
	v_add_f64 v[94:95], v[167:168], -v[94:95]
	v_add_f64 v[161:162], v[171:172], -v[161:162]
	v_add_f64 v[163:164], v[98:99], v[163:164]
	v_add_f64 v[66:67], v[92:93], v[66:67]
	v_add_f64 v[98:99], v[96:97], -v[98:99]
	v_add_f64 v[92:93], v[78:79], -v[92:93]
	v_mul_f64 v[203:204], v[183:184], s[28:29]
	v_add_f64 v[185:186], v[76:77], -v[100:101]
	v_add_f64 v[187:188], v[80:81], -v[102:103]
	;; [unrolled: 1-line block ×4, first 2 shown]
	v_add_f64 v[90:91], v[64:65], v[90:91]
	v_add_f64 v[68:69], v[74:75], v[68:69]
	v_add_f64 v[64:65], v[70:71], -v[64:65]
	v_add_f64 v[74:75], v[72:73], -v[74:75]
	;; [unrolled: 1-line block ×4, first 2 shown]
	v_add_f64 v[197:198], v[100:101], v[58:59]
	v_add_f64 v[199:200], v[102:103], v[62:63]
	v_add_f64 v[100:101], v[100:101], -v[82:83]
	v_add_f64 v[102:103], v[102:103], -v[84:85]
	ds_load_b128 v[56:59], v159
	ds_load_b128 v[60:63], v159 offset:784
	v_mul_f64 v[205:206], v[193:194], s[28:29]
	v_mul_f64 v[207:208], v[195:196], s[28:29]
	s_waitcnt lgkmcnt(0)
	s_barrier
	buffer_gl0_inv
	v_mul_f64 v[88:89], v[88:89], s[22:23]
	v_mul_f64 v[157:158], v[157:158], s[22:23]
	;; [unrolled: 1-line block ×7, first 2 shown]
	v_add_f64 v[96:97], v[163:164], v[96:97]
	v_add_f64 v[66:67], v[66:67], v[78:79]
	;; [unrolled: 1-line block ×4, first 2 shown]
	v_mul_f64 v[185:186], v[185:186], s[22:23]
	v_mul_f64 v[187:188], v[187:188], s[22:23]
	;; [unrolled: 1-line block ×4, first 2 shown]
	v_add_f64 v[70:71], v[90:91], v[70:71]
	v_add_f64 v[68:69], v[68:69], v[72:73]
	;; [unrolled: 1-line block ×4, first 2 shown]
	v_mul_f64 v[82:83], v[100:101], s[8:9]
	v_mul_f64 v[84:85], v[102:103], s[8:9]
	v_fma_f64 v[72:73], v[169:170], s[8:9], v[88:89]
	v_fma_f64 v[78:79], v[173:174], s[8:9], v[157:158]
	v_fma_f64 v[90:91], v[94:95], s[16:17], -v[167:168]
	v_fma_f64 v[163:164], v[161:162], s[16:17], -v[171:172]
	v_fma_f64 v[167:168], v[98:99], s[26:27], v[177:178]
	v_fma_f64 v[169:170], v[92:93], s[26:27], v[179:180]
	v_fma_f64 v[171:172], v[181:182], s[12:13], -v[177:178]
	v_fma_f64 v[98:99], v[98:99], s[24:25], v[201:202]
	v_fma_f64 v[92:93], v[92:93], s[24:25], v[203:204]
	v_fma_f64 v[88:89], v[94:95], s[18:19], -v[88:89]
	v_fma_f64 v[94:95], v[161:162], s[18:19], -v[157:158]
	;; [unrolled: 1-line block ×3, first 2 shown]
	v_fma_f64 v[86:87], v[86:87], s[14:15], v[56:57]
	v_fma_f64 v[175:176], v[175:176], s[14:15], v[58:59]
	;; [unrolled: 1-line block ×6, first 2 shown]
	v_fma_f64 v[179:180], v[195:196], s[12:13], -v[191:192]
	v_fma_f64 v[177:178], v[193:194], s[12:13], -v[189:190]
	v_fma_f64 v[64:65], v[64:65], s[24:25], v[205:206]
	v_fma_f64 v[74:75], v[74:75], s[24:25], v[207:208]
	v_fma_f64 v[185:186], v[76:77], s[18:19], -v[185:186]
	v_fma_f64 v[187:188], v[80:81], s[18:19], -v[187:188]
	v_fma_f64 v[181:182], v[197:198], s[14:15], v[60:61]
	v_fma_f64 v[183:184], v[199:200], s[14:15], v[62:63]
	;; [unrolled: 4-line block ×3, first 2 shown]
	v_fma_f64 v[82:83], v[96:97], s[30:31], v[171:172]
	v_fma_f64 v[96:97], v[96:97], s[30:31], v[98:99]
	;; [unrolled: 1-line block ×4, first 2 shown]
	v_add_f64 v[98:99], v[72:73], v[86:87]
	v_add_f64 v[171:172], v[78:79], v[175:176]
	;; [unrolled: 1-line block ×6, first 2 shown]
	v_fma_f64 v[157:158], v[70:71], s[30:31], v[157:158]
	v_fma_f64 v[173:174], v[68:69], s[30:31], v[161:162]
	;; [unrolled: 1-line block ×6, first 2 shown]
	v_add_f64 v[179:180], v[100:101], v[181:182]
	v_add_f64 v[189:190], v[102:103], v[183:184]
	;; [unrolled: 1-line block ×7, first 2 shown]
	v_add_f64 v[66:67], v[171:172], -v[167:168]
	v_add_f64 v[68:69], v[92:93], v[88:89]
	v_add_f64 v[70:71], v[94:95], -v[96:97]
	v_add_f64 v[72:73], v[78:79], -v[169:170]
	v_add_f64 v[74:75], v[82:83], v[86:87]
	v_add_f64 v[76:77], v[169:170], v[78:79]
	v_add_f64 v[78:79], v[86:87], -v[82:83]
	v_add_f64 v[80:81], v[88:89], -v[92:93]
	v_add_f64 v[82:83], v[96:97], v[94:95]
	v_add_f64 v[84:85], v[98:99], -v[84:85]
	v_add_f64 v[86:87], v[167:168], v[171:172]
	v_add_f64 v[88:89], v[173:174], v[179:180]
	v_add_f64 v[90:91], v[189:190], -v[157:158]
	v_add_f64 v[92:93], v[177:178], v[185:186]
	v_add_f64 v[94:95], v[187:188], -v[175:176]
	v_add_f64 v[96:97], v[100:101], -v[163:164]
	v_add_f64 v[98:99], v[161:162], v[102:103]
	v_add_f64 v[100:101], v[163:164], v[100:101]
	v_add_f64 v[102:103], v[102:103], -v[161:162]
	v_add_f64 v[161:162], v[185:186], -v[177:178]
	v_add_f64 v[163:164], v[175:176], v[187:188]
	v_add_f64 v[167:168], v[179:180], -v[173:174]
	v_add_f64 v[169:170], v[157:158], v[189:190]
	ds_store_b128 v166, v[56:59]
	ds_store_b128 v166, v[64:67] offset:112
	ds_store_b128 v166, v[68:71] offset:224
	;; [unrolled: 1-line block ×6, first 2 shown]
	ds_store_b128 v165, v[60:63]
	ds_store_b128 v165, v[88:91] offset:112
	ds_store_b128 v165, v[92:95] offset:224
	;; [unrolled: 1-line block ×6, first 2 shown]
	s_waitcnt lgkmcnt(0)
	s_barrier
	buffer_gl0_inv
	ds_load_b128 v[56:59], v159 offset:1568
	ds_load_b128 v[60:63], v159 offset:3136
	;; [unrolled: 1-line block ×12, first 2 shown]
	s_waitcnt lgkmcnt(11)
	v_mul_f64 v[157:158], v[110:111], v[58:59]
	v_mul_f64 v[161:162], v[110:111], v[56:57]
	s_waitcnt lgkmcnt(10)
	v_mul_f64 v[163:164], v[106:107], v[62:63]
	v_mul_f64 v[165:166], v[106:107], v[60:61]
	;; [unrolled: 3-line block ×9, first 2 shown]
	v_mul_f64 v[187:188], v[114:115], v[90:91]
	v_mul_f64 v[189:190], v[114:115], v[88:89]
	v_fma_f64 v[56:57], v[108:109], v[56:57], v[157:158]
	v_fma_f64 v[58:59], v[108:109], v[58:59], -v[161:162]
	v_fma_f64 v[60:61], v[104:105], v[60:61], v[163:164]
	v_fma_f64 v[62:63], v[104:105], v[62:63], -v[165:166]
	;; [unrolled: 2-line block ×4, first 2 shown]
	s_waitcnt lgkmcnt(1)
	v_mul_f64 v[157:158], v[118:119], v[98:99]
	v_mul_f64 v[118:119], v[118:119], v[96:97]
	s_waitcnt lgkmcnt(0)
	v_mul_f64 v[161:162], v[114:115], v[102:103]
	v_mul_f64 v[114:115], v[114:115], v[100:101]
	v_fma_f64 v[72:73], v[108:109], v[72:73], v[175:176]
	v_fma_f64 v[74:75], v[108:109], v[74:75], -v[110:111]
	v_fma_f64 v[76:77], v[104:105], v[76:77], v[177:178]
	v_fma_f64 v[78:79], v[104:105], v[78:79], -v[106:107]
	;; [unrolled: 2-line block ×6, first 2 shown]
	v_add_f64 v[104:105], v[56:57], v[64:65]
	v_add_f64 v[106:107], v[58:59], v[66:67]
	;; [unrolled: 1-line block ×4, first 2 shown]
	v_fma_f64 v[96:97], v[116:117], v[96:97], v[157:158]
	v_fma_f64 v[98:99], v[116:117], v[98:99], -v[118:119]
	v_fma_f64 v[100:101], v[112:113], v[100:101], v[161:162]
	v_fma_f64 v[102:103], v[112:113], v[102:103], -v[114:115]
	v_add_f64 v[68:69], v[60:61], -v[68:69]
	v_add_f64 v[70:71], v[62:63], -v[70:71]
	v_add_f64 v[64:65], v[56:57], -v[64:65]
	v_add_f64 v[66:67], v[58:59], -v[66:67]
	v_add_f64 v[112:113], v[72:73], v[80:81]
	v_add_f64 v[114:115], v[74:75], v[82:83]
	;; [unrolled: 1-line block ×4, first 2 shown]
	v_add_f64 v[76:77], v[76:77], -v[84:85]
	v_add_f64 v[78:79], v[78:79], -v[86:87]
	v_add_f64 v[120:121], v[92:93], v[88:89]
	v_add_f64 v[122:123], v[94:95], v[90:91]
	v_add_f64 v[88:89], v[88:89], -v[92:93]
	v_add_f64 v[90:91], v[90:91], -v[94:95]
	;; [unrolled: 1-line block ×4, first 2 shown]
	v_add_f64 v[56:57], v[108:109], v[104:105]
	v_add_f64 v[58:59], v[110:111], v[106:107]
	;; [unrolled: 1-line block ×4, first 2 shown]
	v_add_f64 v[84:85], v[100:101], -v[96:97]
	v_add_f64 v[86:87], v[102:103], -v[98:99]
	v_add_f64 v[124:125], v[68:69], -v[64:65]
	v_add_f64 v[126:127], v[70:71], -v[66:67]
	v_add_f64 v[80:81], v[116:117], v[112:113]
	v_add_f64 v[82:83], v[118:119], v[114:115]
	v_add_f64 v[92:93], v[104:105], -v[120:121]
	v_add_f64 v[94:95], v[106:107], -v[122:123]
	;; [unrolled: 1-line block ×10, first 2 shown]
	v_add_f64 v[68:69], v[88:89], v[68:69]
	v_add_f64 v[70:71], v[90:91], v[70:71]
	v_add_f64 v[88:89], v[64:65], -v[88:89]
	v_add_f64 v[90:91], v[66:67], -v[90:91]
	v_add_f64 v[120:121], v[120:121], v[56:57]
	v_add_f64 v[122:123], v[122:123], v[58:59]
	v_add_f64 v[157:158], v[112:113], -v[60:61]
	v_add_f64 v[161:162], v[114:115], -v[62:63]
	;; [unrolled: 1-line block ×6, first 2 shown]
	v_add_f64 v[76:77], v[84:85], v[76:77]
	v_add_f64 v[78:79], v[86:87], v[78:79]
	;; [unrolled: 1-line block ×4, first 2 shown]
	ds_load_b128 v[56:59], v159
	ds_load_b128 v[60:63], v159 offset:784
	v_mul_f64 v[175:176], v[124:125], s[28:29]
	v_mul_f64 v[92:93], v[92:93], s[22:23]
	;; [unrolled: 1-line block ×8, first 2 shown]
	v_add_f64 v[84:85], v[72:73], -v[84:85]
	v_add_f64 v[86:87], v[74:75], -v[86:87]
	v_mul_f64 v[179:180], v[167:168], s[28:29]
	v_mul_f64 v[181:182], v[169:170], s[28:29]
	v_add_f64 v[112:113], v[116:117], -v[112:113]
	v_add_f64 v[114:115], v[118:119], -v[114:115]
	v_add_f64 v[64:65], v[68:69], v[64:65]
	v_add_f64 v[66:67], v[70:71], v[66:67]
	s_waitcnt lgkmcnt(0)
	s_barrier
	buffer_gl0_inv
	v_add_f64 v[56:57], v[56:57], v[120:121]
	v_add_f64 v[58:59], v[58:59], v[122:123]
	v_mul_f64 v[157:158], v[157:158], s[22:23]
	v_mul_f64 v[161:162], v[161:162], s[22:23]
	;; [unrolled: 1-line block ×6, first 2 shown]
	v_add_f64 v[68:69], v[76:77], v[72:73]
	v_add_f64 v[70:71], v[78:79], v[74:75]
	v_add_f64 v[60:61], v[60:61], v[80:81]
	v_add_f64 v[62:63], v[62:63], v[82:83]
	v_fma_f64 v[72:73], v[96:97], s[8:9], v[92:93]
	v_fma_f64 v[74:75], v[98:99], s[8:9], v[94:95]
	v_fma_f64 v[76:77], v[104:105], s[16:17], -v[108:109]
	v_fma_f64 v[78:79], v[106:107], s[16:17], -v[110:111]
	v_fma_f64 v[96:97], v[88:89], s[26:27], v[100:101]
	v_fma_f64 v[98:99], v[90:91], s[26:27], v[102:103]
	;; [unrolled: 1-line block ×4, first 2 shown]
	v_fma_f64 v[92:93], v[104:105], s[18:19], -v[92:93]
	v_fma_f64 v[94:95], v[106:107], s[18:19], -v[94:95]
	;; [unrolled: 1-line block ×4, first 2 shown]
	v_fma_f64 v[108:109], v[120:121], s[14:15], v[56:57]
	v_fma_f64 v[110:111], v[122:123], s[14:15], v[58:59]
	;; [unrolled: 1-line block ×6, first 2 shown]
	v_fma_f64 v[124:125], v[167:168], s[12:13], -v[163:164]
	v_fma_f64 v[126:127], v[169:170], s[12:13], -v[165:166]
	v_fma_f64 v[84:85], v[84:85], s[24:25], v[179:180]
	v_fma_f64 v[86:87], v[86:87], s[24:25], v[181:182]
	;; [unrolled: 1-line block ×4, first 2 shown]
	v_fma_f64 v[157:158], v[112:113], s[18:19], -v[157:158]
	v_fma_f64 v[161:162], v[114:115], s[18:19], -v[161:162]
	;; [unrolled: 1-line block ×4, first 2 shown]
	v_fma_f64 v[96:97], v[64:65], s[30:31], v[96:97]
	v_fma_f64 v[98:99], v[66:67], s[30:31], v[98:99]
	v_fma_f64 v[88:89], v[64:65], s[30:31], v[88:89]
	v_fma_f64 v[90:91], v[66:67], s[30:31], v[90:91]
	v_fma_f64 v[100:101], v[64:65], s[30:31], v[100:101]
	v_fma_f64 v[102:103], v[66:67], s[30:31], v[102:103]
	v_add_f64 v[116:117], v[72:73], v[108:109]
	v_add_f64 v[118:119], v[74:75], v[110:111]
	;; [unrolled: 1-line block ×6, first 2 shown]
	v_fma_f64 v[110:111], v[68:69], s[30:31], v[120:121]
	v_fma_f64 v[108:109], v[70:71], s[30:31], v[122:123]
	;; [unrolled: 1-line block ×6, first 2 shown]
	v_add_f64 v[163:164], v[104:105], v[80:81]
	v_add_f64 v[165:166], v[106:107], v[82:83]
	;; [unrolled: 1-line block ×7, first 2 shown]
	v_add_f64 v[66:67], v[118:119], -v[96:97]
	v_add_f64 v[68:69], v[90:91], v[92:93]
	v_add_f64 v[70:71], v[94:95], -v[88:89]
	v_add_f64 v[72:73], v[76:77], -v[102:103]
	v_add_f64 v[74:75], v[100:101], v[78:79]
	v_add_f64 v[76:77], v[102:103], v[76:77]
	v_add_f64 v[78:79], v[78:79], -v[100:101]
	v_add_f64 v[80:81], v[92:93], -v[90:91]
	v_add_f64 v[82:83], v[88:89], v[94:95]
	v_add_f64 v[84:85], v[116:117], -v[98:99]
	v_add_f64 v[86:87], v[96:97], v[118:119]
	v_add_f64 v[88:89], v[108:109], v[163:164]
	v_add_f64 v[90:91], v[165:166], -v[110:111]
	v_add_f64 v[92:93], v[126:127], v[104:105]
	v_add_f64 v[94:95], v[106:107], -v[124:125]
	v_add_f64 v[96:97], v[112:113], -v[122:123]
	v_add_f64 v[98:99], v[120:121], v[114:115]
	v_add_f64 v[100:101], v[122:123], v[112:113]
	v_add_f64 v[102:103], v[114:115], -v[120:121]
	v_add_f64 v[104:105], v[104:105], -v[126:127]
	v_add_f64 v[106:107], v[124:125], v[106:107]
	v_add_f64 v[108:109], v[163:164], -v[108:109]
	v_add_f64 v[110:111], v[110:111], v[165:166]
	ds_store_b128 v159, v[56:59]
	ds_store_b128 v159, v[60:63] offset:5488
	ds_store_b128 v159, v[64:67] offset:784
	;; [unrolled: 1-line block ×13, first 2 shown]
	s_waitcnt lgkmcnt(0)
	s_barrier
	buffer_gl0_inv
	ds_load_b128 v[56:59], v159 offset:5488
	ds_load_b128 v[60:63], v159 offset:6272
	;; [unrolled: 1-line block ×7, first 2 shown]
	v_mad_u64_u32 v[112:113], null, s6, v156, 0
	v_mad_u64_u32 v[114:115], null, s4, v160, 0
	s_delay_alu instid0(VALU_DEP_1)
	v_mad_u64_u32 v[116:117], null, s7, v156, v[113:114]
	s_waitcnt lgkmcnt(6)
	v_mul_f64 v[84:85], v[146:147], v[58:59]
	v_mul_f64 v[86:87], v[146:147], v[56:57]
	s_waitcnt lgkmcnt(5)
	v_mul_f64 v[88:89], v[134:135], v[62:63]
	v_mul_f64 v[90:91], v[134:135], v[60:61]
	;; [unrolled: 3-line block ×7, first 2 shown]
	v_mad_u64_u32 v[117:118], null, s5, v160, v[115:116]
	v_mov_b32_e32 v113, v116
	s_delay_alu instid0(VALU_DEP_1) | instskip(NEXT) | instid1(VALU_DEP_3)
	v_lshlrev_b64 v[112:113], 4, v[112:113]
	v_mov_b32_e32 v115, v117
	s_delay_alu instid0(VALU_DEP_1) | instskip(NEXT) | instid1(VALU_DEP_3)
	v_lshlrev_b64 v[114:115], 4, v[114:115]
	v_add_co_u32 v112, vcc_lo, s0, v112
	s_delay_alu instid0(VALU_DEP_4) | instskip(SKIP_1) | instid1(VALU_DEP_2)
	v_add_co_ci_u32_e32 v113, vcc_lo, s1, v113, vcc_lo
	s_mul_i32 s0, s4, 0x620
	v_add_co_u32 v112, vcc_lo, v112, v114
	s_delay_alu instid0(VALU_DEP_2)
	v_add_co_ci_u32_e32 v113, vcc_lo, v113, v115, vcc_lo
	s_add_i32 s1, s3, s2
	v_fma_f64 v[84:85], v[144:145], v[56:57], v[84:85]
	v_fma_f64 v[86:87], v[144:145], v[58:59], -v[86:87]
	v_fma_f64 v[88:89], v[132:133], v[60:61], v[88:89]
	v_fma_f64 v[90:91], v[132:133], v[62:63], -v[90:91]
	;; [unrolled: 2-line block ×7, first 2 shown]
	ds_load_b128 v[56:59], v159
	ds_load_b128 v[60:63], v159 offset:784
	ds_load_b128 v[64:67], v159 offset:1568
	;; [unrolled: 1-line block ×6, first 2 shown]
	v_add_co_u32 v114, vcc_lo, v112, s0
	v_add_co_ci_u32_e32 v115, vcc_lo, s1, v113, vcc_lo
	s_mul_i32 s2, s5, 0xffffde50
	s_delay_alu instid0(VALU_DEP_2) | instskip(NEXT) | instid1(VALU_DEP_2)
	v_add_co_u32 v116, vcc_lo, v114, s0
	v_add_co_ci_u32_e32 v117, vcc_lo, s1, v115, vcc_lo
	s_sub_i32 s2, s2, s4
	s_delay_alu instid0(VALU_DEP_2) | instskip(NEXT) | instid1(VALU_DEP_2)
	v_add_co_u32 v118, vcc_lo, v116, s0
	v_add_co_ci_u32_e32 v119, vcc_lo, s1, v117, vcc_lo
	s_delay_alu instid0(VALU_DEP_2) | instskip(NEXT) | instid1(VALU_DEP_2)
	v_add_co_u32 v120, vcc_lo, v118, s0
	v_add_co_ci_u32_e32 v121, vcc_lo, s1, v119, vcc_lo
	s_delay_alu instid0(VALU_DEP_2)
	v_add_co_u32 v122, vcc_lo, v120, s0
	s_waitcnt lgkmcnt(6)
	v_add_f64 v[84:85], v[56:57], -v[84:85]
	v_add_f64 v[86:87], v[58:59], -v[86:87]
	s_waitcnt lgkmcnt(5)
	v_add_f64 v[88:89], v[60:61], -v[88:89]
	v_add_f64 v[90:91], v[62:63], -v[90:91]
	;; [unrolled: 3-line block ×7, first 2 shown]
	v_add_co_ci_u32_e32 v123, vcc_lo, s1, v121, vcc_lo
	v_add_co_u32 v152, vcc_lo, v122, s0
	s_delay_alu instid0(VALU_DEP_2) | instskip(NEXT) | instid1(VALU_DEP_1)
	v_add_co_ci_u32_e32 v153, vcc_lo, s1, v123, vcc_lo
	v_mad_u64_u32 v[154:155], null, 0xffffde50, s4, v[152:153]
	s_delay_alu instid0(VALU_DEP_1)
	v_add_nc_u32_e32 v155, s2, v155
	s_mov_b32 s2, 0x515a4f1d
	s_mov_b32 s3, 0x3f57e225
	v_fma_f64 v[56:57], v[56:57], 2.0, -v[84:85]
	v_fma_f64 v[58:59], v[58:59], 2.0, -v[86:87]
	;; [unrolled: 1-line block ×14, first 2 shown]
	ds_store_b128 v159, v[88:91] offset:6272
	ds_store_b128 v159, v[92:95] offset:7056
	;; [unrolled: 1-line block ×7, first 2 shown]
	ds_store_b128 v159, v[56:59]
	ds_store_b128 v159, v[60:63] offset:784
	ds_store_b128 v159, v[64:67] offset:1568
	;; [unrolled: 1-line block ×6, first 2 shown]
	s_waitcnt lgkmcnt(0)
	s_barrier
	buffer_gl0_inv
	ds_load_b128 v[56:59], v159
	ds_load_b128 v[60:63], v159 offset:1568
	ds_load_b128 v[64:67], v159 offset:3136
	;; [unrolled: 1-line block ×13, first 2 shown]
	s_waitcnt lgkmcnt(7)
	v_mul_f64 v[136:137], v[30:31], v[82:83]
	v_mul_f64 v[30:31], v[30:31], v[80:81]
	s_waitcnt lgkmcnt(6)
	v_mul_f64 v[138:139], v[6:7], v[86:87]
	v_mul_f64 v[124:125], v[2:3], v[58:59]
	;; [unrolled: 1-line block ×14, first 2 shown]
	s_waitcnt lgkmcnt(5)
	v_mul_f64 v[140:141], v[14:15], v[90:91]
	v_mul_f64 v[14:15], v[14:15], v[88:89]
	s_waitcnt lgkmcnt(4)
	v_mul_f64 v[142:143], v[22:23], v[94:95]
	v_mul_f64 v[22:23], v[22:23], v[92:93]
	;; [unrolled: 3-line block ×6, first 2 shown]
	v_fma_f64 v[56:57], v[0:1], v[56:57], v[124:125]
	v_fma_f64 v[2:3], v[0:1], v[58:59], -v[2:3]
	v_fma_f64 v[58:59], v[8:9], v[60:61], v[126:127]
	v_fma_f64 v[8:9], v[8:9], v[62:63], -v[10:11]
	;; [unrolled: 2-line block ×14, first 2 shown]
	v_add_co_u32 v80, vcc_lo, v154, s0
	v_add_co_ci_u32_e32 v81, vcc_lo, s1, v155, vcc_lo
	v_mul_f64 v[0:1], v[56:57], s[2:3]
	v_mul_f64 v[2:3], v[2:3], s[2:3]
	v_mul_f64 v[4:5], v[58:59], s[2:3]
	v_mul_f64 v[6:7], v[8:9], s[2:3]
	v_mul_f64 v[8:9], v[10:11], s[2:3]
	v_mul_f64 v[10:11], v[16:17], s[2:3]
	v_mul_f64 v[12:13], v[18:19], s[2:3]
	v_mul_f64 v[14:15], v[32:33], s[2:3]
	v_mul_f64 v[16:17], v[34:35], s[2:3]
	v_mul_f64 v[18:19], v[40:41], s[2:3]
	v_mul_f64 v[20:21], v[42:43], s[2:3]
	v_mul_f64 v[22:23], v[24:25], s[2:3]
	v_mul_f64 v[24:25], v[26:27], s[2:3]
	v_mul_f64 v[26:27], v[28:29], s[2:3]
	v_mul_f64 v[28:29], v[30:31], s[2:3]
	v_mul_f64 v[30:31], v[60:61], s[2:3]
	v_mul_f64 v[32:33], v[62:63], s[2:3]
	v_mul_f64 v[34:35], v[64:65], s[2:3]
	v_mul_f64 v[36:37], v[66:67], s[2:3]
	v_mul_f64 v[38:39], v[68:69], s[2:3]
	v_mul_f64 v[40:41], v[70:71], s[2:3]
	v_mul_f64 v[42:43], v[72:73], s[2:3]
	v_mul_f64 v[44:45], v[74:75], s[2:3]
	v_mul_f64 v[46:47], v[46:47], s[2:3]
	v_mul_f64 v[48:49], v[76:77], s[2:3]
	v_mul_f64 v[50:51], v[50:51], s[2:3]
	v_mul_f64 v[52:53], v[78:79], s[2:3]
	v_mul_f64 v[54:55], v[54:55], s[2:3]
	v_add_co_u32 v56, vcc_lo, v80, s0
	v_add_co_ci_u32_e32 v57, vcc_lo, s1, v81, vcc_lo
	s_delay_alu instid0(VALU_DEP_2) | instskip(NEXT) | instid1(VALU_DEP_2)
	v_add_co_u32 v58, vcc_lo, v56, s0
	v_add_co_ci_u32_e32 v59, vcc_lo, s1, v57, vcc_lo
	s_delay_alu instid0(VALU_DEP_2) | instskip(NEXT) | instid1(VALU_DEP_2)
	;; [unrolled: 3-line block ×4, first 2 shown]
	v_add_co_u32 v64, vcc_lo, v62, s0
	v_add_co_ci_u32_e32 v65, vcc_lo, s1, v63, vcc_lo
	s_clause 0x4
	global_store_b128 v[112:113], v[0:3], off
	global_store_b128 v[114:115], v[4:7], off
	;; [unrolled: 1-line block ×14, first 2 shown]
.LBB0_2:
	s_nop 0
	s_sendmsg sendmsg(MSG_DEALLOC_VGPRS)
	s_endpgm
	.section	.rodata,"a",@progbits
	.p2align	6, 0x0
	.amdhsa_kernel bluestein_single_fwd_len686_dim1_dp_op_CI_CI
		.amdhsa_group_segment_fixed_size 10976
		.amdhsa_private_segment_fixed_size 0
		.amdhsa_kernarg_size 104
		.amdhsa_user_sgpr_count 15
		.amdhsa_user_sgpr_dispatch_ptr 0
		.amdhsa_user_sgpr_queue_ptr 0
		.amdhsa_user_sgpr_kernarg_segment_ptr 1
		.amdhsa_user_sgpr_dispatch_id 0
		.amdhsa_user_sgpr_private_segment_size 0
		.amdhsa_wavefront_size32 1
		.amdhsa_uses_dynamic_stack 0
		.amdhsa_enable_private_segment 0
		.amdhsa_system_sgpr_workgroup_id_x 1
		.amdhsa_system_sgpr_workgroup_id_y 0
		.amdhsa_system_sgpr_workgroup_id_z 0
		.amdhsa_system_sgpr_workgroup_info 0
		.amdhsa_system_vgpr_workitem_id 0
		.amdhsa_next_free_vgpr 251
		.amdhsa_next_free_sgpr 32
		.amdhsa_reserve_vcc 1
		.amdhsa_float_round_mode_32 0
		.amdhsa_float_round_mode_16_64 0
		.amdhsa_float_denorm_mode_32 3
		.amdhsa_float_denorm_mode_16_64 3
		.amdhsa_dx10_clamp 1
		.amdhsa_ieee_mode 1
		.amdhsa_fp16_overflow 0
		.amdhsa_workgroup_processor_mode 1
		.amdhsa_memory_ordered 1
		.amdhsa_forward_progress 0
		.amdhsa_shared_vgpr_count 0
		.amdhsa_exception_fp_ieee_invalid_op 0
		.amdhsa_exception_fp_denorm_src 0
		.amdhsa_exception_fp_ieee_div_zero 0
		.amdhsa_exception_fp_ieee_overflow 0
		.amdhsa_exception_fp_ieee_underflow 0
		.amdhsa_exception_fp_ieee_inexact 0
		.amdhsa_exception_int_div_zero 0
	.end_amdhsa_kernel
	.text
.Lfunc_end0:
	.size	bluestein_single_fwd_len686_dim1_dp_op_CI_CI, .Lfunc_end0-bluestein_single_fwd_len686_dim1_dp_op_CI_CI
                                        ; -- End function
	.section	.AMDGPU.csdata,"",@progbits
; Kernel info:
; codeLenInByte = 16968
; NumSgprs: 34
; NumVgprs: 251
; ScratchSize: 0
; MemoryBound: 0
; FloatMode: 240
; IeeeMode: 1
; LDSByteSize: 10976 bytes/workgroup (compile time only)
; SGPRBlocks: 4
; VGPRBlocks: 31
; NumSGPRsForWavesPerEU: 34
; NumVGPRsForWavesPerEU: 251
; Occupancy: 5
; WaveLimiterHint : 1
; COMPUTE_PGM_RSRC2:SCRATCH_EN: 0
; COMPUTE_PGM_RSRC2:USER_SGPR: 15
; COMPUTE_PGM_RSRC2:TRAP_HANDLER: 0
; COMPUTE_PGM_RSRC2:TGID_X_EN: 1
; COMPUTE_PGM_RSRC2:TGID_Y_EN: 0
; COMPUTE_PGM_RSRC2:TGID_Z_EN: 0
; COMPUTE_PGM_RSRC2:TIDIG_COMP_CNT: 0
	.text
	.p2alignl 7, 3214868480
	.fill 96, 4, 3214868480
	.type	__hip_cuid_26cd459ac25699bd,@object ; @__hip_cuid_26cd459ac25699bd
	.section	.bss,"aw",@nobits
	.globl	__hip_cuid_26cd459ac25699bd
__hip_cuid_26cd459ac25699bd:
	.byte	0                               ; 0x0
	.size	__hip_cuid_26cd459ac25699bd, 1

	.ident	"AMD clang version 19.0.0git (https://github.com/RadeonOpenCompute/llvm-project roc-6.4.0 25133 c7fe45cf4b819c5991fe208aaa96edf142730f1d)"
	.section	".note.GNU-stack","",@progbits
	.addrsig
	.addrsig_sym __hip_cuid_26cd459ac25699bd
	.amdgpu_metadata
---
amdhsa.kernels:
  - .args:
      - .actual_access:  read_only
        .address_space:  global
        .offset:         0
        .size:           8
        .value_kind:     global_buffer
      - .actual_access:  read_only
        .address_space:  global
        .offset:         8
        .size:           8
        .value_kind:     global_buffer
      - .actual_access:  read_only
        .address_space:  global
        .offset:         16
        .size:           8
        .value_kind:     global_buffer
      - .actual_access:  read_only
        .address_space:  global
        .offset:         24
        .size:           8
        .value_kind:     global_buffer
      - .actual_access:  read_only
        .address_space:  global
        .offset:         32
        .size:           8
        .value_kind:     global_buffer
      - .offset:         40
        .size:           8
        .value_kind:     by_value
      - .address_space:  global
        .offset:         48
        .size:           8
        .value_kind:     global_buffer
      - .address_space:  global
        .offset:         56
        .size:           8
        .value_kind:     global_buffer
      - .address_space:  global
        .offset:         64
        .size:           8
        .value_kind:     global_buffer
      - .address_space:  global
        .offset:         72
        .size:           8
        .value_kind:     global_buffer
      - .offset:         80
        .size:           4
        .value_kind:     by_value
      - .address_space:  global
        .offset:         88
        .size:           8
        .value_kind:     global_buffer
      - .address_space:  global
        .offset:         96
        .size:           8
        .value_kind:     global_buffer
    .group_segment_fixed_size: 10976
    .kernarg_segment_align: 8
    .kernarg_segment_size: 104
    .language:       OpenCL C
    .language_version:
      - 2
      - 0
    .max_flat_workgroup_size: 49
    .name:           bluestein_single_fwd_len686_dim1_dp_op_CI_CI
    .private_segment_fixed_size: 0
    .sgpr_count:     34
    .sgpr_spill_count: 0
    .symbol:         bluestein_single_fwd_len686_dim1_dp_op_CI_CI.kd
    .uniform_work_group_size: 1
    .uses_dynamic_stack: false
    .vgpr_count:     251
    .vgpr_spill_count: 0
    .wavefront_size: 32
    .workgroup_processor_mode: 1
amdhsa.target:   amdgcn-amd-amdhsa--gfx1100
amdhsa.version:
  - 1
  - 2
...

	.end_amdgpu_metadata
